;; amdgpu-corpus repo=ROCm/rocFFT kind=compiled arch=gfx950 opt=O3
	.text
	.amdgcn_target "amdgcn-amd-amdhsa--gfx950"
	.amdhsa_code_object_version 6
	.protected	bluestein_single_fwd_len1755_dim1_dp_op_CI_CI ; -- Begin function bluestein_single_fwd_len1755_dim1_dp_op_CI_CI
	.globl	bluestein_single_fwd_len1755_dim1_dp_op_CI_CI
	.p2align	8
	.type	bluestein_single_fwd_len1755_dim1_dp_op_CI_CI,@function
bluestein_single_fwd_len1755_dim1_dp_op_CI_CI: ; @bluestein_single_fwd_len1755_dim1_dp_op_CI_CI
; %bb.0:
	s_load_dwordx4 s[4:7], s[0:1], 0x28
	v_mul_u32_u24_e32 v1, 0x231, v0
	v_mov_b32_e32 v217, 0
	v_add_u32_sdwa v6, s2, v1 dst_sel:DWORD dst_unused:UNUSED_PAD src0_sel:DWORD src1_sel:WORD_1
	v_mov_b32_e32 v7, v217
	s_waitcnt lgkmcnt(0)
	v_cmp_gt_u64_e32 vcc, s[4:5], v[6:7]
	s_and_saveexec_b64 s[2:3], vcc
	s_cbranch_execz .LBB0_15
; %bb.1:
	s_load_dwordx4 s[12:15], s[0:1], 0x18
	s_load_dwordx2 s[16:17], s[0:1], 0x0
	s_movk_i32 s2, 0x75
	v_mul_lo_u16_sdwa v1, v1, s2 dst_sel:DWORD dst_unused:UNUSED_PAD src0_sel:WORD_1 src1_sel:DWORD
	v_sub_u16_e32 v216, v0, v1
	s_waitcnt lgkmcnt(0)
	s_load_dwordx4 s[8:11], s[12:13], 0x0
	v_accvgpr_write_b32 a0, v6
	v_mov_b32_e32 v2, s6
	v_mov_b32_e32 v3, s7
	v_lshlrev_b32_e32 v64, 4, v216
	s_waitcnt lgkmcnt(0)
	v_mad_u64_u32 v[0:1], s[2:3], s10, v6, 0
	v_mov_b32_e32 v4, v1
	v_mad_u64_u32 v[4:5], s[2:3], s11, v6, v[4:5]
	v_mov_b32_e32 v1, v4
	v_mad_u64_u32 v[4:5], s[2:3], s8, v216, 0
	v_mov_b32_e32 v6, v5
	v_mad_u64_u32 v[6:7], s[2:3], s9, v216, v[6:7]
	s_mul_i32 s2, s9, 0x87
	s_mul_hi_u32 s3, s8, 0x87
	v_mov_b32_e32 v5, v6
	v_lshl_add_u64 v[0:1], v[0:1], 4, v[2:3]
	global_load_dwordx4 v[80:83], v64, s[16:17]
	s_add_i32 s3, s3, s2
	s_mul_i32 s2, s8, 0x87
	v_lshl_add_u64 v[8:9], v[4:5], 4, v[0:1]
	v_mov_b32_e32 v65, v217
	s_lshl_b64 s[10:11], s[2:3], 4
	v_lshl_add_u64 v[66:67], s[16:17], 0, v[64:65]
	v_lshl_add_u64 v[10:11], v[8:9], 0, s[10:11]
	global_load_dwordx4 v[4:7], v[8:9], off
	global_load_dwordx4 v[0:3], v[10:11], off
	global_load_dwordx4 v[84:87], v64, s[16:17] offset:2160
	s_movk_i32 s2, 0x1000
	v_lshl_add_u64 v[12:13], v[10:11], 0, s[10:11]
	v_add_co_u32_e32 v28, vcc, s2, v66
	global_load_dwordx4 v[8:11], v[12:13], off
	s_nop 0
	v_addc_co_u32_e32 v29, vcc, 0, v67, vcc
	global_load_dwordx4 v[100:103], v[28:29], off offset:224
	global_load_dwordx4 v[88:91], v[28:29], off offset:2384
	v_lshl_add_u64 v[16:17], v[12:13], 0, s[10:11]
	v_lshl_add_u64 v[22:23], v[16:17], 0, s[10:11]
	global_load_dwordx4 v[18:21], v[16:17], off
	global_load_dwordx4 v[12:15], v[22:23], off
	s_movk_i32 s2, 0x2000
	v_add_co_u32_e32 v32, vcc, s2, v66
	v_lshl_add_u64 v[16:17], v[22:23], 0, s[10:11]
	s_nop 0
	v_addc_co_u32_e32 v33, vcc, 0, v67, vcc
	global_load_dwordx4 v[22:25], v[16:17], off
	global_load_dwordx4 v[112:115], v[32:33], off offset:448
	global_load_dwordx4 v[92:95], v[32:33], off offset:2608
	v_lshl_add_u64 v[16:17], v[16:17], 0, s[10:11]
	s_movk_i32 s2, 0x3000
	global_load_dwordx4 v[42:45], v[16:17], off
	v_add_co_u32_e32 v34, vcc, s2, v66
	v_lshl_add_u64 v[16:17], v[16:17], 0, s[10:11]
	s_nop 0
	v_addc_co_u32_e32 v35, vcc, 0, v67, vcc
	global_load_dwordx4 v[46:49], v[16:17], off
	global_load_dwordx4 v[116:119], v[34:35], off offset:672
	global_load_dwordx4 v[96:99], v[34:35], off offset:2832
	v_lshl_add_u64 v[16:17], v[16:17], 0, s[10:11]
	s_movk_i32 s2, 0x4000
	global_load_dwordx4 v[50:53], v[16:17], off
	;; [unrolled: 10-line block ×3, first 2 shown]
	v_add_co_u32_e32 v38, vcc, s2, v66
	s_movk_i32 s2, 0x6000
	s_nop 0
	v_addc_co_u32_e32 v39, vcc, 0, v67, vcc
	v_lshl_add_u64 v[16:17], v[16:17], 0, s[10:11]
	global_load_dwordx4 v[128:131], v[38:39], off offset:1120
	global_load_dwordx4 v[70:73], v[16:17], off
	global_load_dwordx4 v[104:107], v[38:39], off offset:3280
	v_add_co_u32_e32 v40, vcc, s2, v66
	v_lshl_add_u64 v[16:17], v[16:17], 0, s[10:11]
	s_nop 0
	v_addc_co_u32_e32 v41, vcc, 0, v67, vcc
	global_load_dwordx4 v[74:77], v[16:17], off
	global_load_dwordx4 v[120:123], v[40:41], off offset:1344
	s_load_dwordx2 s[2:3], s[0:1], 0x38
	s_load_dwordx4 s[4:7], s[14:15], 0x0
	v_cmp_gt_u16_e32 vcc, 18, v216
	s_waitcnt vmcnt(25)
	v_accvgpr_write_b32 a2, v80
	v_accvgpr_write_b32 a3, v81
	;; [unrolled: 1-line block ×4, first 2 shown]
	s_waitcnt vmcnt(24)
	v_mul_f64 v[78:79], v[6:7], v[82:83]
	v_fmac_f64_e32 v[78:79], v[4:5], v[80:81]
	v_mul_f64 v[4:5], v[4:5], v[82:83]
	v_fma_f64 v[80:81], v[6:7], v[80:81], -v[4:5]
	s_waitcnt vmcnt(22)
	v_mul_f64 v[4:5], v[2:3], v[86:87]
	v_fmac_f64_e32 v[4:5], v[0:1], v[84:85]
	v_mul_f64 v[0:1], v[0:1], v[86:87]
	v_fma_f64 v[6:7], v[2:3], v[84:85], -v[0:1]
	v_accvgpr_write_b32 a6, v84
	s_waitcnt vmcnt(20)
	v_mul_f64 v[0:1], v[10:11], v[102:103]
	v_mul_f64 v[2:3], v[8:9], v[102:103]
	v_fmac_f64_e32 v[0:1], v[8:9], v[100:101]
	v_fma_f64 v[2:3], v[10:11], v[100:101], -v[2:3]
	ds_write_b128 v64, v[0:3] offset:4320
	s_waitcnt vmcnt(18)
	v_mul_f64 v[0:1], v[20:21], v[90:91]
	v_mul_f64 v[2:3], v[18:19], v[90:91]
	v_fmac_f64_e32 v[0:1], v[18:19], v[88:89]
	v_fma_f64 v[2:3], v[20:21], v[88:89], -v[2:3]
	ds_write_b128 v64, v[0:3] offset:6480
	;; [unrolled: 6-line block ×9, first 2 shown]
	s_waitcnt vmcnt(2)
	v_mul_f64 v[0:1], v[72:73], v[106:107]
	v_mul_f64 v[2:3], v[70:71], v[106:107]
	v_fmac_f64_e32 v[0:1], v[70:71], v[104:105]
	v_fma_f64 v[2:3], v[72:73], v[104:105], -v[2:3]
	v_accvgpr_write_b32 a22, v100
	v_accvgpr_write_b32 a10, v88
	;; [unrolled: 1-line block ×10, first 2 shown]
	ds_write_b128 v64, v[0:3] offset:23760
	s_waitcnt vmcnt(0)
	v_mul_f64 v[0:1], v[76:77], v[122:123]
	v_mul_f64 v[2:3], v[74:75], v[122:123]
	v_accvgpr_write_b32 a42, v120
	v_accvgpr_write_b32 a7, v85
	v_accvgpr_write_b32 a8, v86
	v_accvgpr_write_b32 a9, v87
	v_accvgpr_write_b32 a23, v101
	v_accvgpr_write_b32 a24, v102
	v_accvgpr_write_b32 a25, v103
	v_accvgpr_write_b32 a11, v89
	v_accvgpr_write_b32 a12, v90
	v_accvgpr_write_b32 a13, v91
	v_accvgpr_write_b32 a35, v113
	v_accvgpr_write_b32 a36, v114
	v_accvgpr_write_b32 a37, v115
	v_accvgpr_write_b32 a15, v93
	v_accvgpr_write_b32 a16, v94
	v_accvgpr_write_b32 a17, v95
	v_accvgpr_write_b32 a39, v117
	v_accvgpr_write_b32 a40, v118
	v_accvgpr_write_b32 a41, v119
	v_accvgpr_write_b32 a19, v97
	v_accvgpr_write_b32 a20, v98
	v_accvgpr_write_b32 a21, v99
	v_accvgpr_write_b32 a47, v125
	v_accvgpr_write_b32 a48, v126
	v_accvgpr_write_b32 a49, v127
	v_accvgpr_write_b32 a31, v109
	v_accvgpr_write_b32 a32, v110
	v_accvgpr_write_b32 a33, v111
	v_accvgpr_write_b32 a51, v129
	v_accvgpr_write_b32 a52, v130
	v_accvgpr_write_b32 a53, v131
	v_accvgpr_write_b32 a27, v105
	v_accvgpr_write_b32 a28, v106
	v_accvgpr_write_b32 a29, v107
	v_fmac_f64_e32 v[0:1], v[74:75], v[120:121]
	v_accvgpr_write_b32 a43, v121
	v_accvgpr_write_b32 a44, v122
	;; [unrolled: 1-line block ×3, first 2 shown]
	v_fma_f64 v[2:3], v[76:77], v[120:121], -v[2:3]
	ds_write_b128 v64, v[78:81]
	ds_write_b128 v64, v[4:7] offset:2160
	ds_write_b128 v64, v[0:3] offset:25920
	s_and_saveexec_b64 s[12:13], vcc
	s_cbranch_execz .LBB0_3
; %bb.2:
	v_mov_b32_e32 v0, 0xffffa210
	s_mulk_i32 s9, 0xa210
	v_mad_u64_u32 v[8:9], s[14:15], s8, v0, v[16:17]
	s_sub_i32 s8, s9, s8
	v_add_u32_e32 v9, s8, v9
	global_load_dwordx4 v[0:3], v[8:9], off
	global_load_dwordx4 v[4:7], v[66:67], off offset:1872
	v_lshl_add_u64 v[16:17], v[8:9], 0, s[10:11]
	global_load_dwordx4 v[8:11], v[16:17], off
	global_load_dwordx4 v[12:15], v[66:67], off offset:4032
	v_lshl_add_u64 v[30:31], v[16:17], 0, s[10:11]
	v_lshl_add_u64 v[42:43], v[30:31], 0, s[10:11]
	global_load_dwordx4 v[16:19], v[30:31], off
	global_load_dwordx4 v[20:23], v[28:29], off offset:2096
	global_load_dwordx4 v[24:27], v[32:33], off offset:160
	v_lshl_add_u64 v[54:55], v[42:43], 0, s[10:11]
	global_load_dwordx4 v[28:31], v[42:43], off
	s_nop 0
	global_load_dwordx4 v[42:45], v[54:55], off
	global_load_dwordx4 v[46:49], v[32:33], off offset:2320
	global_load_dwordx4 v[50:53], v[34:35], off offset:384
	v_lshl_add_u64 v[32:33], v[54:55], 0, s[10:11]
	global_load_dwordx4 v[54:57], v[32:33], off
	v_lshl_add_u64 v[32:33], v[32:33], 0, s[10:11]
	v_lshl_add_u64 v[62:63], v[32:33], 0, s[10:11]
	global_load_dwordx4 v[58:61], v[32:33], off
	global_load_dwordx4 v[70:73], v[34:35], off offset:2544
	global_load_dwordx4 v[74:77], v[36:37], off offset:608
	s_waitcnt vmcnt(13)
	v_mul_f64 v[114:115], v[2:3], v[6:7]
	global_load_dwordx4 v[32:35], v[62:63], off
	v_lshl_add_u64 v[62:63], v[62:63], 0, s[10:11]
	global_load_dwordx4 v[78:81], v[62:63], off
	global_load_dwordx4 v[82:85], v[36:37], off offset:2768
	global_load_dwordx4 v[86:89], v[38:39], off offset:832
	v_lshl_add_u64 v[36:37], v[62:63], 0, s[10:11]
	global_load_dwordx4 v[90:93], v[36:37], off
	v_lshl_add_u64 v[62:63], v[36:37], 0, s[10:11]
	global_load_dwordx4 v[94:97], v[62:63], off
	s_nop 0
	global_load_dwordx4 v[36:39], v[38:39], off offset:2992
	s_nop 0
	global_load_dwordx4 v[98:101], v[40:41], off offset:1056
	v_lshl_add_u64 v[62:63], v[62:63], 0, s[10:11]
	global_load_dwordx4 v[102:105], v[62:63], off
	global_load_dwordx4 v[106:109], v[40:41], off offset:3216
	v_lshl_add_u64 v[40:41], v[62:63], 0, s[10:11]
	global_load_dwordx4 v[110:113], v[40:41], off
	v_mul_f64 v[6:7], v[0:1], v[6:7]
	v_fmac_f64_e32 v[114:115], v[0:1], v[4:5]
	v_fma_f64 v[116:117], v[2:3], v[4:5], -v[6:7]
	s_waitcnt vmcnt(22)
	v_mul_f64 v[0:1], v[10:11], v[14:15]
	v_mul_f64 v[2:3], v[8:9], v[14:15]
	v_fmac_f64_e32 v[0:1], v[8:9], v[12:13]
	v_fma_f64 v[2:3], v[10:11], v[12:13], -v[2:3]
	ds_write_b128 v64, v[0:3] offset:4032
	s_waitcnt vmcnt(18)
	v_mul_f64 v[0:1], v[30:31], v[26:27]
	v_mul_f64 v[2:3], v[28:29], v[26:27]
	;; [unrolled: 1-line block ×4, first 2 shown]
	v_fmac_f64_e32 v[0:1], v[28:29], v[24:25]
	v_fma_f64 v[2:3], v[30:31], v[24:25], -v[2:3]
	v_fmac_f64_e32 v[4:5], v[16:17], v[20:21]
	v_fma_f64 v[6:7], v[18:19], v[20:21], -v[6:7]
	ds_write_b128 v64, v[0:3] offset:8352
	s_waitcnt vmcnt(14)
	v_mul_f64 v[0:1], v[56:57], v[52:53]
	v_mul_f64 v[2:3], v[54:55], v[52:53]
	ds_write_b128 v64, v[4:7] offset:6192
	v_mul_f64 v[4:5], v[44:45], v[48:49]
	v_mul_f64 v[6:7], v[42:43], v[48:49]
	v_fmac_f64_e32 v[0:1], v[54:55], v[50:51]
	v_fma_f64 v[2:3], v[56:57], v[50:51], -v[2:3]
	v_fmac_f64_e32 v[4:5], v[42:43], v[46:47]
	v_fma_f64 v[6:7], v[44:45], v[46:47], -v[6:7]
	ds_write_b128 v64, v[0:3] offset:12672
	ds_write_b128 v64, v[4:7] offset:10512
	s_waitcnt vmcnt(12)
	v_mul_f64 v[4:5], v[60:61], v[72:73]
	v_mul_f64 v[6:7], v[58:59], v[72:73]
	v_fmac_f64_e32 v[4:5], v[58:59], v[70:71]
	v_fma_f64 v[6:7], v[60:61], v[70:71], -v[6:7]
	ds_write_b128 v64, v[4:7] offset:14832
	ds_write_b128 v64, v[114:117] offset:1872
	s_waitcnt vmcnt(10)
	v_mul_f64 v[0:1], v[34:35], v[76:77]
	v_mul_f64 v[2:3], v[32:33], v[76:77]
	v_fmac_f64_e32 v[0:1], v[32:33], v[74:75]
	v_fma_f64 v[2:3], v[34:35], v[74:75], -v[2:3]
	ds_write_b128 v64, v[0:3] offset:16992
	s_waitcnt vmcnt(6)
	v_mul_f64 v[0:1], v[92:93], v[88:89]
	v_mul_f64 v[2:3], v[90:91], v[88:89]
	;; [unrolled: 1-line block ×4, first 2 shown]
	v_fmac_f64_e32 v[0:1], v[90:91], v[86:87]
	v_fma_f64 v[2:3], v[92:93], v[86:87], -v[2:3]
	v_fmac_f64_e32 v[4:5], v[78:79], v[82:83]
	v_fma_f64 v[6:7], v[80:81], v[82:83], -v[6:7]
	ds_write_b128 v64, v[0:3] offset:21312
	s_waitcnt vmcnt(4)
	v_mul_f64 v[0:1], v[94:95], v[38:39]
	ds_write_b128 v64, v[4:7] offset:19152
	v_fma_f64 v[6:7], v[96:97], v[36:37], -v[0:1]
	s_waitcnt vmcnt(2)
	v_mul_f64 v[0:1], v[104:105], v[100:101]
	v_mul_f64 v[2:3], v[102:103], v[100:101]
	v_fmac_f64_e32 v[0:1], v[102:103], v[98:99]
	v_fma_f64 v[2:3], v[104:105], v[98:99], -v[2:3]
	v_mul_f64 v[4:5], v[96:97], v[38:39]
	ds_write_b128 v64, v[0:3] offset:25632
	s_waitcnt vmcnt(0)
	v_mul_f64 v[0:1], v[112:113], v[108:109]
	v_mul_f64 v[2:3], v[110:111], v[108:109]
	v_fmac_f64_e32 v[4:5], v[94:95], v[36:37]
	v_fmac_f64_e32 v[0:1], v[110:111], v[106:107]
	v_fma_f64 v[2:3], v[112:113], v[106:107], -v[2:3]
	ds_write_b128 v64, v[4:7] offset:23472
	ds_write_b128 v64, v[0:3] offset:27792
.LBB0_3:
	s_or_b64 exec, exec, s[12:13]
	s_waitcnt lgkmcnt(0)
	s_barrier
	ds_read_b128 v[36:39], v64
	ds_read_b128 v[44:47], v64 offset:2160
	ds_read_b128 v[32:35], v64 offset:4320
	;; [unrolled: 1-line block ×12, first 2 shown]
	s_load_dwordx2 s[8:9], s[0:1], 0x8
                                        ; implicit-def: $vgpr0_vgpr1
                                        ; implicit-def: $vgpr4_vgpr5
                                        ; implicit-def: $vgpr96_vgpr97
                                        ; implicit-def: $vgpr100_vgpr101
                                        ; implicit-def: $vgpr104_vgpr105
                                        ; implicit-def: $vgpr108_vgpr109
                                        ; implicit-def: $vgpr112_vgpr113
                                        ; implicit-def: $vgpr116_vgpr117
                                        ; implicit-def: $vgpr120_vgpr121
                                        ; implicit-def: $vgpr124_vgpr125
                                        ; implicit-def: $vgpr128_vgpr129
                                        ; implicit-def: $vgpr132_vgpr133
                                        ; implicit-def: $vgpr136_vgpr137
	s_and_saveexec_b64 s[0:1], vcc
	s_cbranch_execz .LBB0_5
; %bb.4:
	ds_read_b128 v[0:3], v64 offset:1872
	ds_read_b128 v[4:7], v64 offset:4032
	;; [unrolled: 1-line block ×13, first 2 shown]
.LBB0_5:
	s_or_b64 exec, exec, s[0:1]
	s_waitcnt lgkmcnt(0)
	v_add_f64 v[70:71], v[38:39], v[46:47]
	v_add_f64 v[62:63], v[36:37], v[44:45]
	;; [unrolled: 1-line block ×19, first 2 shown]
	s_mov_b64 s[0:1], 0x75
	v_add_f64 v[62:63], v[62:63], v[28:29]
	v_add_f64 v[70:71], v[70:71], v[42:43]
	s_mov_b32 s46, 0x4267c47c
	s_mov_b32 s30, 0x42a4c3d2
	;; [unrolled: 1-line block ×6, first 2 shown]
	v_lshl_add_u64 v[60:61], v[216:217], 0, s[0:1]
	v_add_f64 v[62:63], v[62:63], v[40:41]
	v_add_f64 v[142:143], v[70:71], v[50:51]
	;; [unrolled: 1-line block ×3, first 2 shown]
	v_add_f64 v[46:47], v[46:47], -v[50:51]
	s_mov_b32 s47, 0xbfddbe06
	s_mov_b32 s0, 0xe00740e9
	;; [unrolled: 1-line block ×12, first 2 shown]
	v_add_f64 v[140:141], v[62:63], v[48:49]
	v_add_f64 v[62:63], v[44:45], v[48:49]
	v_add_f64 v[44:45], v[44:45], -v[48:49]
	v_mul_f64 v[48:49], v[46:47], s[46:47]
	s_mov_b32 s1, 0x3fec55a7
	v_mul_f64 v[76:77], v[46:47], s[30:31]
	s_mov_b32 s11, 0x3fe22d96
	;; [unrolled: 2-line block ×6, first 2 shown]
	v_fma_f64 v[50:51], v[62:63], s[0:1], -v[48:49]
	v_mul_f64 v[72:73], v[44:45], s[46:47]
	v_fmac_f64_e32 v[48:49], s[0:1], v[62:63]
	v_fma_f64 v[78:79], v[62:63], s[10:11], -v[76:77]
	v_mul_f64 v[80:81], v[44:45], s[30:31]
	v_fmac_f64_e32 v[76:77], s[10:11], v[62:63]
	v_fma_f64 v[86:87], v[62:63], s[12:13], -v[84:85]
	v_mul_f64 v[88:89], v[44:45], s[38:39]
	v_fmac_f64_e32 v[84:85], s[12:13], v[62:63]
	v_fma_f64 v[94:95], v[62:63], s[14:15], -v[92:93]
	v_mul_f64 v[144:145], v[44:45], s[22:23]
	v_fmac_f64_e32 v[92:93], s[14:15], v[62:63]
	v_fma_f64 v[150:151], v[62:63], s[18:19], -v[148:149]
	v_mul_f64 v[152:153], v[44:45], s[26:27]
	v_fmac_f64_e32 v[148:149], s[18:19], v[62:63]
	v_fma_f64 v[156:157], v[62:63], s[20:21], -v[46:47]
	v_mul_f64 v[44:45], v[44:45], s[28:29]
	v_fmac_f64_e32 v[46:47], s[20:21], v[62:63]
	v_add_f64 v[50:51], v[36:37], v[50:51]
	v_fma_f64 v[74:75], s[0:1], v[70:71], v[72:73]
	v_add_f64 v[48:49], v[36:37], v[48:49]
	v_fma_f64 v[72:73], v[70:71], s[0:1], -v[72:73]
	v_add_f64 v[78:79], v[36:37], v[78:79]
	v_fma_f64 v[82:83], s[10:11], v[70:71], v[80:81]
	v_add_f64 v[76:77], v[36:37], v[76:77]
	v_fma_f64 v[80:81], v[70:71], s[10:11], -v[80:81]
	;; [unrolled: 4-line block ×6, first 2 shown]
	v_add_f64 v[46:47], v[34:35], v[42:43]
	v_add_f64 v[34:35], v[34:35], -v[42:43]
	v_add_f64 v[74:75], v[38:39], v[74:75]
	v_add_f64 v[72:73], v[38:39], v[72:73]
	;; [unrolled: 1-line block ×13, first 2 shown]
	v_add_f64 v[32:33], v[32:33], -v[40:41]
	v_mul_f64 v[40:41], v[34:35], s[30:31]
	v_fma_f64 v[42:43], v[44:45], s[10:11], -v[40:41]
	v_add_f64 v[42:43], v[42:43], v[50:51]
	v_mul_f64 v[50:51], v[32:33], s[30:31]
	v_fmac_f64_e32 v[40:41], s[10:11], v[44:45]
	v_fma_f64 v[62:63], s[10:11], v[46:47], v[50:51]
	v_add_f64 v[40:41], v[40:41], v[48:49]
	v_fma_f64 v[48:49], v[46:47], s[10:11], -v[50:51]
	v_mul_f64 v[50:51], v[34:35], s[22:23]
	v_add_f64 v[48:49], v[48:49], v[72:73]
	v_fma_f64 v[70:71], v[44:45], s[14:15], -v[50:51]
	v_mul_f64 v[72:73], v[32:33], s[22:23]
	v_fmac_f64_e32 v[50:51], s[14:15], v[44:45]
	v_add_f64 v[62:63], v[62:63], v[74:75]
	v_fma_f64 v[74:75], s[14:15], v[46:47], v[72:73]
	v_add_f64 v[50:51], v[50:51], v[76:77]
	v_fma_f64 v[72:73], v[46:47], s[14:15], -v[72:73]
	v_mul_f64 v[76:77], v[34:35], s[28:29]
	v_add_f64 v[70:71], v[70:71], v[78:79]
	v_add_f64 v[72:73], v[72:73], v[80:81]
	v_fma_f64 v[78:79], v[44:45], s[20:21], -v[76:77]
	v_mul_f64 v[80:81], v[32:33], s[28:29]
	v_fmac_f64_e32 v[76:77], s[20:21], v[44:45]
	s_mov_b32 s41, 0x3fe5384d
	s_mov_b32 s40, s26
	v_add_f64 v[74:75], v[74:75], v[82:83]
	v_fma_f64 v[82:83], s[20:21], v[46:47], v[80:81]
	v_add_f64 v[76:77], v[76:77], v[84:85]
	v_fma_f64 v[80:81], v[46:47], s[20:21], -v[80:81]
	v_mul_f64 v[84:85], v[34:35], s[40:41]
	v_add_f64 v[78:79], v[78:79], v[86:87]
	v_add_f64 v[80:81], v[80:81], v[88:89]
	v_fma_f64 v[86:87], v[44:45], s[18:19], -v[84:85]
	v_mul_f64 v[88:89], v[32:33], s[40:41]
	v_fmac_f64_e32 v[84:85], s[18:19], v[44:45]
	s_mov_b32 s25, 0x3fefc445
	s_mov_b32 s24, s38
	v_add_f64 v[82:83], v[82:83], v[90:91]
	v_fma_f64 v[90:91], s[18:19], v[46:47], v[88:89]
	v_add_f64 v[84:85], v[84:85], v[92:93]
	v_fma_f64 v[88:89], v[46:47], s[18:19], -v[88:89]
	v_mul_f64 v[92:93], v[34:35], s[24:25]
	s_mov_b32 s35, 0x3fddbe06
	s_mov_b32 s34, s46
	v_add_f64 v[86:87], v[86:87], v[94:95]
	v_add_f64 v[88:89], v[88:89], v[144:145]
	v_fma_f64 v[94:95], v[44:45], s[12:13], -v[92:93]
	v_mul_f64 v[144:145], v[32:33], s[24:25]
	v_mul_f64 v[32:33], v[32:33], s[34:35]
	v_add_f64 v[94:95], v[94:95], v[150:151]
	v_fmac_f64_e32 v[92:93], s[12:13], v[44:45]
	v_mul_f64 v[34:35], v[34:35], s[34:35]
	v_fma_f64 v[150:151], s[0:1], v[46:47], v[32:33]
	v_fma_f64 v[32:33], v[46:47], s[0:1], -v[32:33]
	v_add_f64 v[92:93], v[92:93], v[148:149]
	v_fma_f64 v[148:149], v[44:45], s[0:1], -v[34:35]
	v_fmac_f64_e32 v[34:35], s[0:1], v[44:45]
	v_add_f64 v[32:33], v[32:33], v[38:39]
	v_add_f64 v[38:39], v[26:27], v[30:31]
	v_add_f64 v[26:27], v[26:27], -v[30:31]
	v_add_f64 v[34:35], v[34:35], v[36:37]
	v_add_f64 v[36:37], v[24:25], v[28:29]
	v_add_f64 v[24:25], v[24:25], -v[28:29]
	v_mul_f64 v[28:29], v[26:27], s[38:39]
	v_fma_f64 v[30:31], v[36:37], s[12:13], -v[28:29]
	v_add_f64 v[30:31], v[30:31], v[42:43]
	v_mul_f64 v[42:43], v[24:25], s[38:39]
	v_fmac_f64_e32 v[28:29], s[12:13], v[36:37]
	v_fma_f64 v[44:45], s[12:13], v[38:39], v[42:43]
	v_add_f64 v[28:29], v[28:29], v[40:41]
	v_fma_f64 v[40:41], v[38:39], s[12:13], -v[42:43]
	v_mul_f64 v[42:43], v[26:27], s[28:29]
	v_add_f64 v[90:91], v[90:91], v[146:147]
	v_fma_f64 v[146:147], s[12:13], v[46:47], v[144:145]
	v_fma_f64 v[144:145], v[46:47], s[12:13], -v[144:145]
	v_fma_f64 v[46:47], v[36:37], s[20:21], -v[42:43]
	v_fmac_f64_e32 v[42:43], s[20:21], v[36:37]
	s_mov_b32 s45, 0x3fedeba7
	s_mov_b32 s44, s22
	v_add_f64 v[40:41], v[40:41], v[48:49]
	v_mul_f64 v[48:49], v[24:25], s[28:29]
	v_add_f64 v[42:43], v[42:43], v[50:51]
	v_mul_f64 v[50:51], v[26:27], s[44:45]
	v_add_f64 v[44:45], v[44:45], v[62:63]
	v_add_f64 v[46:47], v[46:47], v[70:71]
	v_fma_f64 v[62:63], s[20:21], v[38:39], v[48:49]
	v_fma_f64 v[48:49], v[38:39], s[20:21], -v[48:49]
	v_fma_f64 v[70:71], v[36:37], s[14:15], -v[50:51]
	v_fmac_f64_e32 v[50:51], s[14:15], v[36:37]
	v_add_f64 v[48:49], v[48:49], v[72:73]
	v_mul_f64 v[72:73], v[24:25], s[44:45]
	v_add_f64 v[50:51], v[50:51], v[76:77]
	v_mul_f64 v[76:77], v[26:27], s[34:35]
	v_add_f64 v[62:63], v[62:63], v[74:75]
	v_add_f64 v[70:71], v[70:71], v[78:79]
	v_fma_f64 v[74:75], s[14:15], v[38:39], v[72:73]
	v_fma_f64 v[72:73], v[38:39], s[14:15], -v[72:73]
	v_fma_f64 v[78:79], v[36:37], s[0:1], -v[76:77]
	v_fmac_f64_e32 v[76:77], s[0:1], v[36:37]
	;; [unrolled: 10-line block ×3, first 2 shown]
	v_mul_f64 v[26:27], v[26:27], s[26:27]
	v_add_f64 v[80:81], v[80:81], v[88:89]
	v_mul_f64 v[88:89], v[24:25], s[30:31]
	v_add_f64 v[84:85], v[84:85], v[92:93]
	v_fma_f64 v[92:93], v[36:37], s[18:19], -v[26:27]
	v_mul_f64 v[24:25], v[24:25], s[26:27]
	v_fmac_f64_e32 v[26:27], s[18:19], v[36:37]
	v_add_f64 v[86:87], v[86:87], v[94:95]
	v_fma_f64 v[94:95], s[18:19], v[38:39], v[24:25]
	v_add_f64 v[26:27], v[26:27], v[34:35]
	v_fma_f64 v[24:25], v[38:39], s[18:19], -v[24:25]
	v_add_f64 v[34:35], v[18:19], v[22:23]
	v_add_f64 v[18:19], v[18:19], -v[22:23]
	v_add_f64 v[24:25], v[24:25], v[32:33]
	v_add_f64 v[32:33], v[16:17], v[20:21]
	v_add_f64 v[16:17], v[16:17], -v[20:21]
	v_mul_f64 v[20:21], v[18:19], s[22:23]
	v_fma_f64 v[22:23], v[32:33], s[14:15], -v[20:21]
	v_add_f64 v[22:23], v[22:23], v[30:31]
	v_mul_f64 v[30:31], v[16:17], s[22:23]
	v_fmac_f64_e32 v[20:21], s[14:15], v[32:33]
	v_fma_f64 v[36:37], s[14:15], v[34:35], v[30:31]
	v_add_f64 v[20:21], v[20:21], v[28:29]
	v_fma_f64 v[28:29], v[34:35], s[14:15], -v[30:31]
	v_mul_f64 v[30:31], v[18:19], s[40:41]
	v_add_f64 v[82:83], v[82:83], v[90:91]
	v_fma_f64 v[90:91], s[10:11], v[38:39], v[88:89]
	v_fma_f64 v[88:89], v[38:39], s[10:11], -v[88:89]
	v_fma_f64 v[38:39], v[32:33], s[18:19], -v[30:31]
	v_fmac_f64_e32 v[30:31], s[18:19], v[32:33]
	v_add_f64 v[28:29], v[28:29], v[40:41]
	v_mul_f64 v[40:41], v[16:17], s[40:41]
	v_add_f64 v[30:31], v[30:31], v[42:43]
	v_mul_f64 v[42:43], v[18:19], s[34:35]
	v_add_f64 v[36:37], v[36:37], v[44:45]
	v_add_f64 v[38:39], v[38:39], v[46:47]
	v_fma_f64 v[44:45], s[18:19], v[34:35], v[40:41]
	v_fma_f64 v[40:41], v[34:35], s[18:19], -v[40:41]
	v_fma_f64 v[46:47], v[32:33], s[0:1], -v[42:43]
	v_fmac_f64_e32 v[42:43], s[0:1], v[32:33]
	v_add_f64 v[40:41], v[40:41], v[48:49]
	v_mul_f64 v[48:49], v[16:17], s[34:35]
	v_add_f64 v[42:43], v[42:43], v[50:51]
	v_mul_f64 v[50:51], v[18:19], s[38:39]
	v_add_f64 v[44:45], v[44:45], v[62:63]
	v_add_f64 v[46:47], v[46:47], v[70:71]
	v_fma_f64 v[62:63], s[0:1], v[34:35], v[48:49]
	v_fma_f64 v[48:49], v[34:35], s[0:1], -v[48:49]
	v_fma_f64 v[70:71], v[32:33], s[12:13], -v[50:51]
	v_fmac_f64_e32 v[50:51], s[12:13], v[32:33]
	s_mov_b32 s43, 0x3fcea1e5
	s_mov_b32 s42, s28
	v_add_f64 v[48:49], v[48:49], v[72:73]
	v_mul_f64 v[72:73], v[16:17], s[38:39]
	v_add_f64 v[50:51], v[50:51], v[76:77]
	v_mul_f64 v[76:77], v[18:19], s[42:43]
	s_mov_b32 s37, 0x3fea55e2
	s_mov_b32 s36, s30
	v_add_f64 v[62:63], v[62:63], v[74:75]
	v_add_f64 v[70:71], v[70:71], v[78:79]
	v_fma_f64 v[74:75], s[12:13], v[34:35], v[72:73]
	v_fma_f64 v[72:73], v[34:35], s[12:13], -v[72:73]
	v_fma_f64 v[78:79], v[32:33], s[20:21], -v[76:77]
	v_fmac_f64_e32 v[76:77], s[20:21], v[32:33]
	v_mul_f64 v[18:19], v[18:19], s[36:37]
	v_add_f64 v[72:73], v[72:73], v[80:81]
	v_mul_f64 v[80:81], v[16:17], s[42:43]
	v_add_f64 v[76:77], v[76:77], v[84:85]
	v_fma_f64 v[84:85], v[32:33], s[10:11], -v[18:19]
	v_mul_f64 v[16:17], v[16:17], s[36:37]
	v_fmac_f64_e32 v[18:19], s[10:11], v[32:33]
	v_add_f64 v[78:79], v[78:79], v[86:87]
	v_fma_f64 v[86:87], s[10:11], v[34:35], v[16:17]
	v_add_f64 v[18:19], v[18:19], v[26:27]
	v_fma_f64 v[16:17], v[34:35], s[10:11], -v[16:17]
	v_add_f64 v[26:27], v[10:11], v[14:15]
	v_add_f64 v[10:11], v[10:11], -v[14:15]
	v_add_f64 v[16:17], v[16:17], v[24:25]
	v_add_f64 v[24:25], v[8:9], v[12:13]
	v_add_f64 v[8:9], v[8:9], -v[12:13]
	v_mul_f64 v[12:13], v[10:11], s[26:27]
	v_fma_f64 v[14:15], v[24:25], s[18:19], -v[12:13]
	v_add_f64 v[14:15], v[14:15], v[22:23]
	v_mul_f64 v[22:23], v[8:9], s[26:27]
	v_fmac_f64_e32 v[12:13], s[18:19], v[24:25]
	v_fma_f64 v[32:33], s[18:19], v[26:27], v[22:23]
	v_add_f64 v[12:13], v[12:13], v[20:21]
	v_fma_f64 v[20:21], v[26:27], s[18:19], -v[22:23]
	v_mul_f64 v[22:23], v[10:11], s[24:25]
	v_add_f64 v[74:75], v[74:75], v[82:83]
	v_fma_f64 v[82:83], s[20:21], v[34:35], v[80:81]
	v_fma_f64 v[80:81], v[34:35], s[20:21], -v[80:81]
	v_add_f64 v[20:21], v[20:21], v[28:29]
	v_fma_f64 v[28:29], v[24:25], s[12:13], -v[22:23]
	v_mul_f64 v[34:35], v[8:9], s[24:25]
	v_fmac_f64_e32 v[22:23], s[12:13], v[24:25]
	v_add_f64 v[32:33], v[32:33], v[36:37]
	v_fma_f64 v[36:37], s[12:13], v[26:27], v[34:35]
	v_add_f64 v[22:23], v[22:23], v[30:31]
	v_fma_f64 v[30:31], v[26:27], s[12:13], -v[34:35]
	v_mul_f64 v[34:35], v[10:11], s[30:31]
	v_add_f64 v[28:29], v[28:29], v[38:39]
	v_add_f64 v[30:31], v[30:31], v[40:41]
	v_fma_f64 v[38:39], v[24:25], s[10:11], -v[34:35]
	v_mul_f64 v[40:41], v[8:9], s[30:31]
	v_fmac_f64_e32 v[34:35], s[10:11], v[24:25]
	v_add_f64 v[36:37], v[36:37], v[44:45]
	v_fma_f64 v[44:45], s[10:11], v[26:27], v[40:41]
	v_add_f64 v[34:35], v[34:35], v[42:43]
	v_fma_f64 v[40:41], v[26:27], s[10:11], -v[40:41]
	v_mul_f64 v[42:43], v[10:11], s[42:43]
	v_add_f64 v[38:39], v[38:39], v[46:47]
	;; [unrolled: 10-line block ×3, first 2 shown]
	v_add_f64 v[48:49], v[48:49], v[72:73]
	v_fma_f64 v[70:71], v[24:25], s[0:1], -v[50:51]
	v_mul_f64 v[72:73], v[8:9], s[34:35]
	v_mul_f64 v[8:9], v[8:9], s[22:23]
	v_add_f64 v[62:63], v[62:63], v[74:75]
	v_add_f64 v[70:71], v[70:71], v[78:79]
	v_fma_f64 v[74:75], s[0:1], v[26:27], v[72:73]
	v_fmac_f64_e32 v[50:51], s[0:1], v[24:25]
	v_fma_f64 v[72:73], v[26:27], s[0:1], -v[72:73]
	v_mul_f64 v[10:11], v[10:11], s[22:23]
	v_fma_f64 v[78:79], s[14:15], v[26:27], v[8:9]
	v_fma_f64 v[8:9], v[26:27], s[14:15], -v[8:9]
	v_add_f64 v[26:27], v[54:55], -v[58:59]
	v_add_f64 v[50:51], v[50:51], v[76:77]
	v_fma_f64 v[76:77], v[24:25], s[14:15], -v[10:11]
	v_fmac_f64_e32 v[10:11], s[14:15], v[24:25]
	v_add_f64 v[8:9], v[8:9], v[16:17]
	v_add_f64 v[16:17], v[52:53], v[56:57]
	v_add_f64 v[24:25], v[52:53], -v[56:57]
	v_mul_f64 v[52:53], v[26:27], s[28:29]
	v_add_f64 v[10:11], v[10:11], v[18:19]
	v_add_f64 v[18:19], v[54:55], v[58:59]
	v_fma_f64 v[54:55], v[16:17], s[20:21], -v[52:53]
	v_add_f64 v[144:145], v[144:145], v[152:153]
	v_add_f64 v[152:153], v[54:55], v[14:15]
	v_mul_f64 v[14:15], v[24:25], s[28:29]
	v_fmac_f64_e32 v[52:53], s[20:21], v[16:17]
	v_add_f64 v[146:147], v[146:147], v[154:155]
	v_add_f64 v[88:89], v[88:89], v[144:145]
	v_add_f64 v[144:145], v[52:53], v[12:13]
	v_fma_f64 v[12:13], v[18:19], s[20:21], -v[14:15]
	v_add_f64 v[90:91], v[90:91], v[146:147]
	v_add_f64 v[146:147], v[12:13], v[20:21]
	v_mul_f64 v[12:13], v[26:27], s[34:35]
	v_fma_f64 v[54:55], s[20:21], v[18:19], v[14:15]
	v_fma_f64 v[14:15], v[16:17], s[0:1], -v[12:13]
	v_add_f64 v[148:149], v[148:149], v[156:157]
	v_add_f64 v[160:161], v[14:15], v[28:29]
	v_mul_f64 v[14:15], v[24:25], s[34:35]
	v_fmac_f64_e32 v[12:13], s[0:1], v[16:17]
	v_add_f64 v[150:151], v[150:151], v[158:159]
	v_add_f64 v[92:93], v[92:93], v[148:149]
	;; [unrolled: 1-line block ×3, first 2 shown]
	v_fma_f64 v[12:13], v[18:19], s[0:1], -v[14:15]
	v_add_f64 v[94:95], v[94:95], v[150:151]
	v_add_f64 v[150:151], v[12:13], v[30:31]
	v_mul_f64 v[12:13], v[26:27], s[26:27]
	v_fma_f64 v[20:21], s[0:1], v[18:19], v[14:15]
	v_fma_f64 v[14:15], v[16:17], s[18:19], -v[12:13]
	v_add_f64 v[168:169], v[14:15], v[38:39]
	v_mul_f64 v[14:15], v[24:25], s[26:27]
	v_fmac_f64_e32 v[12:13], s[18:19], v[16:17]
	v_add_f64 v[156:157], v[12:13], v[34:35]
	v_fma_f64 v[12:13], v[18:19], s[18:19], -v[14:15]
	v_add_f64 v[158:159], v[12:13], v[40:41]
	v_mul_f64 v[12:13], v[26:27], s[36:37]
	v_add_f64 v[162:163], v[20:21], v[36:37]
	v_fma_f64 v[20:21], s[18:19], v[18:19], v[14:15]
	v_fma_f64 v[14:15], v[16:17], s[10:11], -v[12:13]
	v_add_f64 v[172:173], v[14:15], v[46:47]
	v_mul_f64 v[14:15], v[24:25], s[36:37]
	v_fmac_f64_e32 v[12:13], s[10:11], v[16:17]
	v_add_f64 v[164:165], v[12:13], v[42:43]
	v_fma_f64 v[12:13], v[18:19], s[10:11], -v[14:15]
	v_add_f64 v[166:167], v[12:13], v[48:49]
	v_mul_f64 v[12:13], v[26:27], s[22:23]
	v_add_f64 v[170:171], v[20:21], v[44:45]
	v_fma_f64 v[20:21], s[10:11], v[18:19], v[14:15]
	v_fma_f64 v[14:15], v[16:17], s[14:15], -v[12:13]
	v_add_f64 v[80:81], v[80:81], v[88:89]
	v_add_f64 v[180:181], v[14:15], v[70:71]
	v_mul_f64 v[14:15], v[24:25], s[22:23]
	v_fmac_f64_e32 v[12:13], s[14:15], v[16:17]
	v_add_f64 v[72:73], v[72:73], v[80:81]
	v_add_f64 v[176:177], v[12:13], v[50:51]
	v_fma_f64 v[12:13], v[18:19], s[14:15], -v[14:15]
	v_add_f64 v[84:85], v[84:85], v[92:93]
	v_add_f64 v[178:179], v[12:13], v[72:73]
	v_mul_f64 v[12:13], v[26:27], s[24:25]
	v_add_f64 v[82:83], v[82:83], v[90:91]
	v_add_f64 v[76:77], v[76:77], v[84:85]
	;; [unrolled: 1-line block ×3, first 2 shown]
	v_fma_f64 v[20:21], s[14:15], v[18:19], v[14:15]
	v_fma_f64 v[14:15], v[16:17], s[12:13], -v[12:13]
	v_add_f64 v[74:75], v[74:75], v[82:83]
	v_add_f64 v[184:185], v[14:15], v[76:77]
	v_mul_f64 v[14:15], v[24:25], s[24:25]
	v_fmac_f64_e32 v[12:13], s[12:13], v[16:17]
	v_add_f64 v[86:87], v[86:87], v[94:95]
	v_add_f64 v[182:183], v[20:21], v[74:75]
	v_fma_f64 v[20:21], s[12:13], v[18:19], v[14:15]
	v_add_f64 v[188:189], v[12:13], v[10:11]
	v_fma_f64 v[10:11], v[18:19], s[12:13], -v[14:15]
	v_add_f64 v[18:19], v[6:7], -v[138:139]
	v_add_f64 v[78:79], v[78:79], v[86:87]
	v_add_f64 v[190:191], v[10:11], v[8:9]
	;; [unrolled: 1-line block ×3, first 2 shown]
	v_add_f64 v[16:17], v[4:5], -v[136:137]
	v_mul_f64 v[8:9], v[18:19], s[46:47]
	v_add_f64 v[186:187], v[20:21], v[78:79]
	v_add_f64 v[14:15], v[6:7], v[138:139]
	v_mul_f64 v[10:11], v[16:17], s[46:47]
	v_fma_f64 v[20:21], s[0:1], v[12:13], v[8:9]
	v_add_f64 v[24:25], v[0:1], v[20:21]
	v_fma_f64 v[20:21], v[14:15], s[0:1], -v[10:11]
	v_add_f64 v[26:27], v[2:3], v[20:21]
	v_mul_f64 v[20:21], v[18:19], s[30:31]
	v_fma_f64 v[22:23], v[12:13], s[10:11], -v[20:21]
	v_add_f64 v[28:29], v[0:1], v[22:23]
	v_mul_f64 v[22:23], v[16:17], s[30:31]
	v_fmac_f64_e32 v[20:21], s[10:11], v[12:13]
	v_add_f64 v[154:155], v[54:55], v[32:33]
	v_add_f64 v[32:33], v[0:1], v[20:21]
	v_fma_f64 v[20:21], v[14:15], s[10:11], -v[22:23]
	v_add_f64 v[34:35], v[2:3], v[20:21]
	v_mul_f64 v[20:21], v[18:19], s[38:39]
	v_fma_f64 v[30:31], s[10:11], v[14:15], v[22:23]
	v_fma_f64 v[22:23], v[12:13], s[12:13], -v[20:21]
	v_add_f64 v[36:37], v[0:1], v[22:23]
	v_mul_f64 v[22:23], v[16:17], s[38:39]
	v_fmac_f64_e32 v[20:21], s[12:13], v[12:13]
	v_add_f64 v[40:41], v[0:1], v[20:21]
	v_fma_f64 v[20:21], v[14:15], s[12:13], -v[22:23]
	v_add_f64 v[42:43], v[2:3], v[20:21]
	v_mul_f64 v[20:21], v[18:19], s[22:23]
	v_fma_f64 v[38:39], s[12:13], v[14:15], v[22:23]
	v_fma_f64 v[22:23], v[12:13], s[14:15], -v[20:21]
	v_add_f64 v[44:45], v[0:1], v[22:23]
	v_mul_f64 v[22:23], v[16:17], s[22:23]
	v_fmac_f64_e32 v[20:21], s[14:15], v[12:13]
	;; [unrolled: 9-line block ×3, first 2 shown]
	v_add_f64 v[56:57], v[0:1], v[20:21]
	v_fma_f64 v[20:21], v[14:15], s[18:19], -v[22:23]
	v_mul_f64 v[18:19], v[18:19], s[28:29]
	v_add_f64 v[58:59], v[2:3], v[20:21]
	v_fma_f64 v[20:21], v[12:13], s[20:21], -v[18:19]
	v_mul_f64 v[16:17], v[16:17], s[28:29]
	v_add_f64 v[62:63], v[0:1], v[20:21]
	v_fma_f64 v[20:21], s[20:21], v[14:15], v[16:17]
	v_fma_f64 v[16:17], v[14:15], s[20:21], -v[16:17]
	v_add_f64 v[78:79], v[98:99], -v[134:135]
	v_add_f64 v[70:71], v[2:3], v[20:21]
	v_fmac_f64_e32 v[18:19], s[20:21], v[12:13]
	v_add_f64 v[74:75], v[2:3], v[16:17]
	v_add_f64 v[20:21], v[96:97], v[132:133]
	v_add_f64 v[76:77], v[96:97], -v[132:133]
	v_mul_f64 v[16:17], v[78:79], s[30:31]
	v_fma_f64 v[54:55], s[18:19], v[14:15], v[22:23]
	v_add_f64 v[72:73], v[0:1], v[18:19]
	v_add_f64 v[22:23], v[98:99], v[134:135]
	v_mul_f64 v[18:19], v[76:77], s[30:31]
	v_fma_f64 v[80:81], s[10:11], v[20:21], v[16:17]
	v_add_f64 v[80:81], v[80:81], v[24:25]
	v_fma_f64 v[24:25], v[22:23], s[10:11], -v[18:19]
	v_add_f64 v[82:83], v[24:25], v[26:27]
	v_mul_f64 v[24:25], v[78:79], s[22:23]
	v_fma_f64 v[26:27], v[20:21], s[14:15], -v[24:25]
	v_add_f64 v[84:85], v[26:27], v[28:29]
	v_mul_f64 v[26:27], v[76:77], s[22:23]
	v_fmac_f64_e32 v[24:25], s[14:15], v[20:21]
	v_add_f64 v[32:33], v[24:25], v[32:33]
	v_fma_f64 v[24:25], v[22:23], s[14:15], -v[26:27]
	v_add_f64 v[34:35], v[24:25], v[34:35]
	v_mul_f64 v[24:25], v[78:79], s[28:29]
	v_fma_f64 v[28:29], s[14:15], v[22:23], v[26:27]
	v_fma_f64 v[26:27], v[20:21], s[20:21], -v[24:25]
	v_add_f64 v[36:37], v[26:27], v[36:37]
	v_mul_f64 v[26:27], v[76:77], s[28:29]
	v_fmac_f64_e32 v[24:25], s[20:21], v[20:21]
	v_add_f64 v[40:41], v[24:25], v[40:41]
	v_fma_f64 v[24:25], v[22:23], s[20:21], -v[26:27]
	v_add_f64 v[30:31], v[2:3], v[30:31]
	v_add_f64 v[42:43], v[24:25], v[42:43]
	v_mul_f64 v[24:25], v[78:79], s[40:41]
	v_add_f64 v[86:87], v[28:29], v[30:31]
	v_fma_f64 v[28:29], s[20:21], v[22:23], v[26:27]
	v_fma_f64 v[26:27], v[20:21], s[18:19], -v[24:25]
	v_add_f64 v[44:45], v[26:27], v[44:45]
	v_mul_f64 v[26:27], v[76:77], s[40:41]
	v_fmac_f64_e32 v[24:25], s[18:19], v[20:21]
	v_add_f64 v[48:49], v[24:25], v[48:49]
	v_fma_f64 v[24:25], v[22:23], s[18:19], -v[26:27]
	v_add_f64 v[38:39], v[2:3], v[38:39]
	v_add_f64 v[50:51], v[24:25], v[50:51]
	v_mul_f64 v[24:25], v[78:79], s[24:25]
	v_add_f64 v[38:39], v[28:29], v[38:39]
	v_fma_f64 v[28:29], s[18:19], v[22:23], v[26:27]
	v_fma_f64 v[26:27], v[20:21], s[12:13], -v[24:25]
	v_add_f64 v[52:53], v[26:27], v[52:53]
	v_mul_f64 v[26:27], v[76:77], s[24:25]
	v_fmac_f64_e32 v[24:25], s[12:13], v[20:21]
	v_add_f64 v[56:57], v[24:25], v[56:57]
	v_fma_f64 v[24:25], v[22:23], s[12:13], -v[26:27]
	v_add_f64 v[46:47], v[2:3], v[46:47]
	v_add_f64 v[58:59], v[24:25], v[58:59]
	v_mul_f64 v[24:25], v[78:79], s[34:35]
	v_add_f64 v[46:47], v[28:29], v[46:47]
	v_fma_f64 v[28:29], s[12:13], v[22:23], v[26:27]
	v_fma_f64 v[26:27], v[20:21], s[0:1], -v[24:25]
	v_add_f64 v[54:55], v[2:3], v[54:55]
	v_add_f64 v[62:63], v[26:27], v[62:63]
	v_mul_f64 v[26:27], v[76:77], s[34:35]
	v_fmac_f64_e32 v[24:25], s[0:1], v[20:21]
	v_add_f64 v[54:55], v[28:29], v[54:55]
	v_fma_f64 v[28:29], s[0:1], v[22:23], v[26:27]
	v_add_f64 v[72:73], v[24:25], v[72:73]
	v_fma_f64 v[24:25], v[22:23], s[0:1], -v[26:27]
	v_add_f64 v[78:79], v[102:103], -v[130:131]
	v_add_f64 v[70:71], v[28:29], v[70:71]
	v_add_f64 v[74:75], v[24:25], v[74:75]
	;; [unrolled: 1-line block ×3, first 2 shown]
	v_add_f64 v[76:77], v[100:101], -v[128:129]
	v_mul_f64 v[24:25], v[78:79], s[38:39]
	v_add_f64 v[30:31], v[102:103], v[130:131]
	v_mul_f64 v[26:27], v[76:77], s[38:39]
	v_fma_f64 v[88:89], s[12:13], v[28:29], v[24:25]
	v_add_f64 v[80:81], v[88:89], v[80:81]
	v_fma_f64 v[88:89], v[30:31], s[12:13], -v[26:27]
	v_add_f64 v[82:83], v[88:89], v[82:83]
	v_mul_f64 v[88:89], v[78:79], s[28:29]
	v_fma_f64 v[90:91], v[28:29], s[20:21], -v[88:89]
	v_add_f64 v[84:85], v[90:91], v[84:85]
	v_mul_f64 v[90:91], v[76:77], s[28:29]
	v_fmac_f64_e32 v[88:89], s[20:21], v[28:29]
	v_add_f64 v[88:89], v[88:89], v[32:33]
	v_fma_f64 v[32:33], v[30:31], s[20:21], -v[90:91]
	v_fma_f64 v[92:93], s[20:21], v[30:31], v[90:91]
	v_add_f64 v[90:91], v[32:33], v[34:35]
	v_mul_f64 v[32:33], v[78:79], s[44:45]
	v_fma_f64 v[34:35], v[28:29], s[14:15], -v[32:33]
	v_add_f64 v[86:87], v[92:93], v[86:87]
	v_add_f64 v[92:93], v[34:35], v[36:37]
	v_mul_f64 v[34:35], v[76:77], s[44:45]
	v_fmac_f64_e32 v[32:33], s[14:15], v[28:29]
	v_add_f64 v[40:41], v[32:33], v[40:41]
	v_fma_f64 v[32:33], v[30:31], s[14:15], -v[34:35]
	v_add_f64 v[42:43], v[32:33], v[42:43]
	v_mul_f64 v[32:33], v[78:79], s[34:35]
	v_fma_f64 v[36:37], s[14:15], v[30:31], v[34:35]
	v_fma_f64 v[34:35], v[28:29], s[0:1], -v[32:33]
	v_add_f64 v[44:45], v[34:35], v[44:45]
	v_mul_f64 v[34:35], v[76:77], s[34:35]
	v_fmac_f64_e32 v[32:33], s[0:1], v[28:29]
	v_add_f64 v[48:49], v[32:33], v[48:49]
	v_fma_f64 v[32:33], v[30:31], s[0:1], -v[34:35]
	v_add_f64 v[50:51], v[32:33], v[50:51]
	v_mul_f64 v[32:33], v[78:79], s[30:31]
	v_add_f64 v[94:95], v[36:37], v[38:39]
	v_fma_f64 v[36:37], s[0:1], v[30:31], v[34:35]
	v_fma_f64 v[34:35], v[28:29], s[10:11], -v[32:33]
	v_add_f64 v[52:53], v[34:35], v[52:53]
	v_mul_f64 v[34:35], v[76:77], s[30:31]
	v_fmac_f64_e32 v[32:33], s[10:11], v[28:29]
	v_add_f64 v[56:57], v[32:33], v[56:57]
	v_fma_f64 v[32:33], v[30:31], s[10:11], -v[34:35]
	v_add_f64 v[58:59], v[32:33], v[58:59]
	v_mul_f64 v[32:33], v[78:79], s[26:27]
	v_add_f64 v[46:47], v[36:37], v[46:47]
	v_fma_f64 v[36:37], s[10:11], v[30:31], v[34:35]
	v_fma_f64 v[34:35], v[28:29], s[18:19], -v[32:33]
	v_add_f64 v[62:63], v[34:35], v[62:63]
	v_mul_f64 v[34:35], v[76:77], s[26:27]
	v_fmac_f64_e32 v[32:33], s[18:19], v[28:29]
	v_add_f64 v[54:55], v[36:37], v[54:55]
	v_fma_f64 v[36:37], s[18:19], v[30:31], v[34:35]
	v_add_f64 v[72:73], v[32:33], v[72:73]
	v_fma_f64 v[32:33], v[30:31], s[18:19], -v[34:35]
	v_add_f64 v[78:79], v[106:107], -v[126:127]
	v_add_f64 v[70:71], v[36:37], v[70:71]
	v_add_f64 v[74:75], v[32:33], v[74:75]
	;; [unrolled: 1-line block ×3, first 2 shown]
	v_add_f64 v[76:77], v[104:105], -v[124:125]
	v_mul_f64 v[32:33], v[78:79], s[22:23]
	v_add_f64 v[38:39], v[106:107], v[126:127]
	v_mul_f64 v[34:35], v[76:77], s[22:23]
	v_fma_f64 v[192:193], s[14:15], v[36:37], v[32:33]
	v_add_f64 v[80:81], v[192:193], v[80:81]
	v_fma_f64 v[192:193], v[38:39], s[14:15], -v[34:35]
	v_add_f64 v[82:83], v[192:193], v[82:83]
	v_mul_f64 v[192:193], v[78:79], s[40:41]
	v_fma_f64 v[194:195], v[36:37], s[18:19], -v[192:193]
	v_add_f64 v[84:85], v[194:195], v[84:85]
	v_mul_f64 v[194:195], v[76:77], s[40:41]
	v_fmac_f64_e32 v[192:193], s[18:19], v[36:37]
	v_add_f64 v[88:89], v[192:193], v[88:89]
	v_fma_f64 v[192:193], v[38:39], s[18:19], -v[194:195]
	v_add_f64 v[90:91], v[192:193], v[90:91]
	v_mul_f64 v[192:193], v[78:79], s[34:35]
	v_fma_f64 v[196:197], s[18:19], v[38:39], v[194:195]
	v_fma_f64 v[194:195], v[36:37], s[0:1], -v[192:193]
	v_add_f64 v[92:93], v[194:195], v[92:93]
	v_mul_f64 v[194:195], v[76:77], s[34:35]
	v_fmac_f64_e32 v[192:193], s[0:1], v[36:37]
	v_add_f64 v[192:193], v[192:193], v[40:41]
	v_fma_f64 v[40:41], v[38:39], s[0:1], -v[194:195]
	v_add_f64 v[86:87], v[196:197], v[86:87]
	v_fma_f64 v[196:197], s[0:1], v[38:39], v[194:195]
	v_add_f64 v[194:195], v[40:41], v[42:43]
	v_mul_f64 v[40:41], v[78:79], s[38:39]
	v_fma_f64 v[42:43], v[36:37], s[12:13], -v[40:41]
	v_add_f64 v[94:95], v[196:197], v[94:95]
	v_add_f64 v[196:197], v[42:43], v[44:45]
	v_mul_f64 v[42:43], v[76:77], s[38:39]
	v_fmac_f64_e32 v[40:41], s[12:13], v[36:37]
	v_add_f64 v[48:49], v[40:41], v[48:49]
	v_fma_f64 v[40:41], v[38:39], s[12:13], -v[42:43]
	v_add_f64 v[50:51], v[40:41], v[50:51]
	v_mul_f64 v[40:41], v[78:79], s[42:43]
	v_fma_f64 v[44:45], s[12:13], v[38:39], v[42:43]
	v_fma_f64 v[42:43], v[36:37], s[20:21], -v[40:41]
	v_add_f64 v[52:53], v[42:43], v[52:53]
	v_mul_f64 v[42:43], v[76:77], s[42:43]
	v_fmac_f64_e32 v[40:41], s[20:21], v[36:37]
	v_add_f64 v[56:57], v[40:41], v[56:57]
	v_fma_f64 v[40:41], v[38:39], s[20:21], -v[42:43]
	v_add_f64 v[58:59], v[40:41], v[58:59]
	v_mul_f64 v[40:41], v[78:79], s[36:37]
	v_add_f64 v[198:199], v[44:45], v[46:47]
	v_fma_f64 v[44:45], s[20:21], v[38:39], v[42:43]
	v_fma_f64 v[42:43], v[36:37], s[10:11], -v[40:41]
	v_add_f64 v[62:63], v[42:43], v[62:63]
	v_mul_f64 v[42:43], v[76:77], s[36:37]
	v_fmac_f64_e32 v[40:41], s[10:11], v[36:37]
	v_add_f64 v[200:201], v[40:41], v[72:73]
	v_fma_f64 v[40:41], v[38:39], s[10:11], -v[42:43]
	v_add_f64 v[206:207], v[110:111], -v[122:123]
	v_add_f64 v[54:55], v[44:45], v[54:55]
	v_fma_f64 v[44:45], s[10:11], v[38:39], v[42:43]
	v_add_f64 v[202:203], v[40:41], v[74:75]
	v_add_f64 v[42:43], v[108:109], v[120:121]
	v_add_f64 v[204:205], v[108:109], -v[120:121]
	v_mul_f64 v[40:41], v[206:207], s[26:27]
	v_add_f64 v[70:71], v[44:45], v[70:71]
	v_add_f64 v[44:45], v[110:111], v[122:123]
	v_mul_f64 v[46:47], v[204:205], s[26:27]
	v_fma_f64 v[72:73], s[18:19], v[42:43], v[40:41]
	v_add_f64 v[208:209], v[72:73], v[80:81]
	v_fma_f64 v[72:73], v[44:45], s[18:19], -v[46:47]
	v_add_f64 v[210:211], v[72:73], v[82:83]
	v_mul_f64 v[72:73], v[206:207], s[24:25]
	v_fma_f64 v[74:75], v[42:43], s[12:13], -v[72:73]
	v_add_f64 v[212:213], v[74:75], v[84:85]
	v_mul_f64 v[74:75], v[204:205], s[24:25]
	v_fmac_f64_e32 v[72:73], s[12:13], v[42:43]
	v_add_f64 v[88:89], v[72:73], v[88:89]
	v_fma_f64 v[72:73], v[44:45], s[12:13], -v[74:75]
	v_add_f64 v[90:91], v[72:73], v[90:91]
	v_mul_f64 v[72:73], v[206:207], s[30:31]
	v_fma_f64 v[76:77], s[12:13], v[44:45], v[74:75]
	v_fma_f64 v[74:75], v[42:43], s[10:11], -v[72:73]
	v_add_f64 v[92:93], v[74:75], v[92:93]
	v_mul_f64 v[74:75], v[204:205], s[30:31]
	v_fmac_f64_e32 v[72:73], s[10:11], v[42:43]
	v_add_f64 v[192:193], v[72:73], v[192:193]
	v_fma_f64 v[72:73], v[44:45], s[10:11], -v[74:75]
	v_add_f64 v[194:195], v[72:73], v[194:195]
	v_mul_f64 v[72:73], v[206:207], s[42:43]
	v_add_f64 v[214:215], v[76:77], v[86:87]
	v_fma_f64 v[76:77], s[10:11], v[44:45], v[74:75]
	v_fma_f64 v[74:75], v[42:43], s[20:21], -v[72:73]
	v_add_f64 v[196:197], v[74:75], v[196:197]
	v_mul_f64 v[74:75], v[204:205], s[42:43]
	v_fmac_f64_e32 v[72:73], s[20:21], v[42:43]
	v_add_f64 v[84:85], v[72:73], v[48:49]
	v_fma_f64 v[48:49], v[44:45], s[20:21], -v[74:75]
	v_add_f64 v[86:87], v[48:49], v[50:51]
	v_mul_f64 v[48:49], v[206:207], s[34:35]
	v_add_f64 v[94:95], v[76:77], v[94:95]
	v_fma_f64 v[76:77], s[20:21], v[44:45], v[74:75]
	v_fma_f64 v[50:51], v[42:43], s[0:1], -v[48:49]
	v_add_f64 v[198:199], v[76:77], v[198:199]
	v_add_f64 v[76:77], v[50:51], v[52:53]
	v_mul_f64 v[50:51], v[204:205], s[34:35]
	v_fmac_f64_e32 v[48:49], s[0:1], v[42:43]
	v_add_f64 v[72:73], v[48:49], v[56:57]
	v_fma_f64 v[48:49], v[44:45], s[0:1], -v[50:51]
	v_add_f64 v[74:75], v[48:49], v[58:59]
	v_mul_f64 v[48:49], v[206:207], s[22:23]
	v_fma_f64 v[52:53], s[0:1], v[44:45], v[50:51]
	v_fma_f64 v[50:51], v[42:43], s[14:15], -v[48:49]
	v_add_f64 v[62:63], v[50:51], v[62:63]
	v_mul_f64 v[50:51], v[204:205], s[22:23]
	v_fmac_f64_e32 v[48:49], s[14:15], v[42:43]
	v_add_f64 v[56:57], v[48:49], v[200:201]
	v_fma_f64 v[48:49], v[44:45], s[14:15], -v[50:51]
	v_add_f64 v[82:83], v[114:115], -v[118:119]
	v_add_f64 v[78:79], v[52:53], v[54:55]
	v_fma_f64 v[52:53], s[14:15], v[44:45], v[50:51]
	v_add_f64 v[58:59], v[48:49], v[202:203]
	v_add_f64 v[50:51], v[112:113], v[116:117]
	v_add_f64 v[80:81], v[112:113], -v[116:117]
	v_mul_f64 v[48:49], v[82:83], s[28:29]
	v_add_f64 v[70:71], v[52:53], v[70:71]
	v_add_f64 v[52:53], v[114:115], v[118:119]
	v_mul_f64 v[54:55], v[80:81], s[28:29]
	v_fma_f64 v[200:201], s[20:21], v[50:51], v[48:49]
	v_add_f64 v[202:203], v[200:201], v[208:209]
	v_fma_f64 v[200:201], v[52:53], s[20:21], -v[54:55]
	v_add_f64 v[204:205], v[200:201], v[210:211]
	v_accvgpr_write_b32 a58, v202
	v_mul_f64 v[200:201], v[82:83], s[34:35]
	v_accvgpr_write_b32 a59, v203
	v_accvgpr_write_b32 a60, v204
	;; [unrolled: 1-line block ×3, first 2 shown]
	v_fma_f64 v[202:203], v[50:51], s[0:1], -v[200:201]
	v_add_f64 v[206:207], v[202:203], v[212:213]
	v_mul_f64 v[202:203], v[80:81], s[34:35]
	v_fmac_f64_e32 v[200:201], s[0:1], v[50:51]
	v_add_f64 v[200:201], v[200:201], v[88:89]
	v_fma_f64 v[88:89], v[52:53], s[0:1], -v[202:203]
	v_fma_f64 v[204:205], s[0:1], v[52:53], v[202:203]
	v_add_f64 v[202:203], v[88:89], v[90:91]
	v_mul_f64 v[88:89], v[82:83], s[26:27]
	v_accvgpr_write_b32 a66, v200
	v_fma_f64 v[90:91], v[50:51], s[18:19], -v[88:89]
	v_accvgpr_write_b32 a67, v201
	v_accvgpr_write_b32 a68, v202
	;; [unrolled: 1-line block ×3, first 2 shown]
	v_add_f64 v[200:201], v[90:91], v[92:93]
	v_mul_f64 v[90:91], v[80:81], s[26:27]
	v_fma_f64 v[92:93], s[18:19], v[52:53], v[90:91]
	v_fmac_f64_e32 v[88:89], s[18:19], v[50:51]
	v_add_f64 v[202:203], v[92:93], v[94:95]
	v_add_f64 v[92:93], v[88:89], v[192:193]
	v_fma_f64 v[88:89], v[52:53], s[18:19], -v[90:91]
	v_add_f64 v[94:95], v[88:89], v[194:195]
	v_mul_f64 v[88:89], v[82:83], s[36:37]
	v_fma_f64 v[90:91], v[50:51], s[10:11], -v[88:89]
	v_add_f64 v[192:193], v[90:91], v[196:197]
	v_mul_f64 v[90:91], v[80:81], s[36:37]
	v_fmac_f64_e32 v[88:89], s[10:11], v[50:51]
	v_accvgpr_write_b32 a74, v92
	v_add_f64 v[88:89], v[88:89], v[84:85]
	v_fma_f64 v[84:85], v[52:53], s[10:11], -v[90:91]
	v_accvgpr_write_b32 a75, v93
	v_accvgpr_write_b32 a76, v94
	;; [unrolled: 1-line block ×3, first 2 shown]
	v_fma_f64 v[92:93], s[10:11], v[52:53], v[90:91]
	v_add_f64 v[90:91], v[84:85], v[86:87]
	v_mul_f64 v[84:85], v[82:83], s[22:23]
	v_accvgpr_write_b32 a82, v88
	v_fma_f64 v[86:87], v[50:51], s[14:15], -v[84:85]
	v_accvgpr_write_b32 a83, v89
	v_accvgpr_write_b32 a84, v90
	;; [unrolled: 1-line block ×3, first 2 shown]
	v_add_f64 v[88:89], v[86:87], v[76:77]
	v_mul_f64 v[76:77], v[80:81], s[22:23]
	v_fmac_f64_e32 v[84:85], s[14:15], v[50:51]
	v_fma_f64 v[86:87], s[14:15], v[52:53], v[76:77]
	v_add_f64 v[84:85], v[84:85], v[72:73]
	v_fma_f64 v[72:73], v[52:53], s[14:15], -v[76:77]
	v_add_f64 v[90:91], v[86:87], v[78:79]
	v_add_f64 v[86:87], v[72:73], v[74:75]
	v_mul_f64 v[72:73], v[82:83], s[24:25]
	v_fma_f64 v[74:75], v[50:51], s[12:13], -v[72:73]
	v_add_f64 v[68:69], v[74:75], v[62:63]
	v_mul_f64 v[62:63], v[80:81], s[24:25]
	v_fma_f64 v[74:75], s[12:13], v[52:53], v[62:63]
	v_add_f64 v[70:71], v[74:75], v[70:71]
	v_accvgpr_write_b32 a93, v71
	v_fmac_f64_e32 v[72:73], s[12:13], v[50:51]
	v_accvgpr_write_b32 a92, v70
	v_accvgpr_write_b32 a91, v69
	;; [unrolled: 1-line block ×3, first 2 shown]
	v_add_f64 v[68:69], v[72:73], v[56:57]
	v_fma_f64 v[56:57], v[52:53], s[12:13], -v[62:63]
	v_add_f64 v[70:71], v[56:57], v[58:59]
	v_accvgpr_write_b32 a97, v71
	v_mul_lo_u16_e32 v56, 13, v216
	v_add_f64 v[208:209], v[204:205], v[214:215]
	v_accvgpr_write_b32 a54, v206
	v_accvgpr_write_b32 a62, v200
	v_add_f64 v[194:195], v[92:93], v[198:199]
	v_accvgpr_write_b32 a70, v192
	v_accvgpr_write_b32 a78, v88
	;; [unrolled: 1-line block ×6, first 2 shown]
	v_lshlrev_b32_e32 v70, 4, v56
	v_accvgpr_write_b32 a55, v207
	v_accvgpr_write_b32 a56, v208
	;; [unrolled: 1-line block ×15, first 2 shown]
	s_barrier
	ds_write_b128 v70, v[140:143]
	ds_write_b128 v70, v[152:155] offset:16
	ds_write_b128 v70, v[160:163] offset:32
	;; [unrolled: 1-line block ×12, first 2 shown]
	v_mul_u32_u24_e32 v175, 13, v60
	s_and_saveexec_b64 s[22:23], vcc
	s_cbranch_execz .LBB0_7
; %bb.6:
	v_mul_f64 v[12:13], v[12:13], s[0:1]
	v_mul_f64 v[14:15], v[14:15], s[0:1]
	v_add_f64 v[10:11], v[10:11], v[14:15]
	v_add_f64 v[8:9], v[12:13], -v[8:9]
	v_add_f64 v[10:11], v[2:3], v[10:11]
	v_add_f64 v[8:9], v[0:1], v[8:9]
	;; [unrolled: 1-line block ×14, first 2 shown]
	v_mul_f64 v[20:21], v[20:21], s[10:11]
	v_mul_f64 v[22:23], v[22:23], s[10:11]
	v_add_f64 v[2:3], v[2:3], v[118:119]
	v_add_f64 v[0:1], v[0:1], v[116:117]
	v_mul_f64 v[28:29], v[28:29], s[12:13]
	v_mul_f64 v[30:31], v[30:31], s[12:13]
	v_add_f64 v[18:19], v[18:19], v[22:23]
	v_add_f64 v[16:17], v[20:21], -v[16:17]
	v_add_f64 v[2:3], v[2:3], v[122:123]
	v_add_f64 v[0:1], v[0:1], v[120:121]
	v_mul_f64 v[36:37], v[36:37], s[14:15]
	v_mul_f64 v[38:39], v[38:39], s[14:15]
	v_add_f64 v[26:27], v[26:27], v[30:31]
	v_add_f64 v[10:11], v[18:19], v[10:11]
	v_add_f64 v[24:25], v[28:29], -v[24:25]
	v_add_f64 v[8:9], v[16:17], v[8:9]
	v_add_f64 v[2:3], v[2:3], v[126:127]
	v_add_f64 v[0:1], v[0:1], v[124:125]
	v_mul_f64 v[42:43], v[42:43], s[18:19]
	v_mul_f64 v[44:45], v[44:45], s[18:19]
	v_add_f64 v[34:35], v[34:35], v[38:39]
	v_add_f64 v[10:11], v[26:27], v[10:11]
	v_add_f64 v[22:23], v[36:37], -v[32:33]
	v_add_f64 v[8:9], v[24:25], v[8:9]
	v_add_f64 v[2:3], v[2:3], v[130:131]
	v_add_f64 v[0:1], v[0:1], v[128:129]
	v_mul_f64 v[50:51], v[50:51], s[20:21]
	v_mul_f64 v[52:53], v[52:53], s[20:21]
	v_add_f64 v[44:45], v[46:47], v[44:45]
	v_add_f64 v[10:11], v[34:35], v[10:11]
	v_add_f64 v[18:19], v[42:43], -v[40:41]
	v_add_f64 v[8:9], v[22:23], v[8:9]
	v_add_f64 v[2:3], v[2:3], v[134:135]
	v_add_f64 v[0:1], v[0:1], v[132:133]
	;; [unrolled: 1-line block ×4, first 2 shown]
	v_add_f64 v[14:15], v[50:51], -v[48:49]
	v_add_f64 v[8:9], v[18:19], v[8:9]
	v_add_f64 v[2:3], v[2:3], v[138:139]
	;; [unrolled: 1-line block ×3, first 2 shown]
	v_lshlrev_b32_e32 v4, 4, v175
	v_add_f64 v[10:11], v[52:53], v[10:11]
	v_add_f64 v[8:9], v[14:15], v[8:9]
	ds_write_b128 v4, v[0:3]
	ds_write_b128 v4, v[8:11] offset:16
	ds_write_b128 v4, a[54:57] offset:32
	;; [unrolled: 1-line block ×12, first 2 shown]
.LBB0_7:
	s_or_b64 exec, exec, s[22:23]
	s_movk_i32 s0, 0x4f
	v_mul_lo_u16_sdwa v0, v216, s0 dst_sel:DWORD dst_unused:UNUSED_PAD src0_sel:BYTE_0 src1_sel:DWORD
	v_lshrrev_b16_e32 v21, 10, v0
	v_mul_lo_u16_e32 v0, 13, v21
	v_sub_u16_e32 v0, v216, v0
	v_and_b32_e32 v61, 0xff, v0
	v_lshlrev_b32_e32 v0, 5, v61
	s_waitcnt lgkmcnt(0)
	s_barrier
	global_load_dwordx4 v[114:117], v0, s[8:9] offset:16
	global_load_dwordx4 v[118:121], v0, s[8:9]
	v_mul_lo_u16_sdwa v0, v60, s0 dst_sel:DWORD dst_unused:UNUSED_PAD src0_sel:BYTE_0 src1_sel:DWORD
	v_lshrrev_b16_e32 v65, 10, v0
	v_mul_lo_u16_e32 v0, 13, v65
	v_sub_u16_e32 v0, v60, v0
	v_and_b32_e32 v68, 0xff, v0
	s_mov_b64 s[0:1], 0xea
	v_lshlrev_b32_e32 v0, 5, v68
	v_lshl_add_u64 v[16:17], v[216:217], 0, s[0:1]
	s_movk_i32 s0, 0x4ec5
	global_load_dwordx4 v[128:131], v0, s[8:9] offset:16
	global_load_dwordx4 v[136:139], v0, s[8:9]
	v_mul_u32_u24_sdwa v0, v16, s0 dst_sel:DWORD dst_unused:UNUSED_PAD src0_sel:WORD_0 src1_sel:DWORD
	v_lshrrev_b32_e32 v69, 18, v0
	v_mul_lo_u16_e32 v0, 13, v69
	v_sub_u16_e32 v71, v16, v0
	v_lshlrev_b16_e32 v0, 1, v71
	v_add_u32_e32 v17, 0x15f, v216
	v_lshlrev_b32_e32 v0, 4, v0
	global_load_dwordx4 v[140:143], v0, s[8:9] offset:16
	global_load_dwordx4 v[144:147], v0, s[8:9]
	v_mul_u32_u24_sdwa v0, v17, s0 dst_sel:DWORD dst_unused:UNUSED_PAD src0_sel:WORD_0 src1_sel:DWORD
	v_lshrrev_b32_e32 v104, 18, v0
	v_mul_lo_u16_e32 v0, 13, v104
	v_sub_u16_e32 v105, v17, v0
	v_lshlrev_b16_e32 v0, 1, v105
	v_lshlrev_b32_e32 v0, 4, v0
	v_add_u32_e32 v20, 0x1d4, v216
	global_load_dwordx4 v[148:151], v0, s[8:9] offset:16
	global_load_dwordx4 v[152:155], v0, s[8:9]
	v_mul_u32_u24_sdwa v0, v20, s0 dst_sel:DWORD dst_unused:UNUSED_PAD src0_sel:WORD_0 src1_sel:DWORD
	v_lshrrev_b32_e32 v106, 18, v0
	v_mul_lo_u16_e32 v0, 13, v106
	v_sub_u16_e32 v107, v20, v0
	v_lshlrev_b16_e32 v0, 1, v107
	v_lshlrev_b32_e32 v0, 4, v0
	global_load_dwordx4 v[168:171], v0, s[8:9]
	global_load_dwordx4 v[160:163], v0, s[8:9] offset:16
	ds_read_b128 v[22:25], v64
	ds_read_b128 v[12:15], v64 offset:1872
	ds_read_b128 v[26:29], v64 offset:18720
	;; [unrolled: 1-line block ×14, first 2 shown]
	s_mov_b32 s0, 0xe8584caa
	s_mov_b32 s1, 0x3febb67a
	;; [unrolled: 1-line block ×4, first 2 shown]
	v_lshlrev_b32_e32 v18, 4, v216
	v_mov_b32_e32 v19, 0
	v_lshl_add_u64 v[40:41], s[16:17], 0, v[18:19]
	v_mul_u32_u24_e32 v18, 39, v21
	s_waitcnt lgkmcnt(0)
	s_barrier
	s_movk_i32 s12, 0xa5
	s_movk_i32 s16, 0x1000
	v_mov_b32_e32 v174, v216
	s_mov_b32 s13, 0xbfee6f0e
	s_mov_b32 s15, 0xbfe2cf23
	s_waitcnt vmcnt(9)
	v_mul_f64 v[62:63], v[28:29], v[116:117]
	s_waitcnt vmcnt(8)
	v_mul_f64 v[38:39], v[56:57], v[120:121]
	v_mul_f64 v[58:59], v[54:55], v[120:121]
	;; [unrolled: 1-line block ×3, first 2 shown]
	v_fma_f64 v[38:39], v[54:55], v[118:119], -v[38:39]
	v_fma_f64 v[54:55], v[26:27], v[114:115], -v[62:63]
	v_fmac_f64_e32 v[84:85], v[28:29], v[114:115]
	v_fmac_f64_e32 v[58:59], v[56:57], v[118:119]
	s_waitcnt vmcnt(7)
	v_mul_f64 v[90:91], v[32:33], v[130:131]
	v_fma_f64 v[62:63], v[30:31], v[128:129], -v[90:91]
	s_waitcnt vmcnt(6)
	v_mul_f64 v[86:87], v[36:37], v[138:139]
	v_mul_f64 v[92:93], v[30:31], v[130:131]
	;; [unrolled: 1-line block ×3, first 2 shown]
	v_fma_f64 v[56:57], v[34:35], v[136:137], -v[86:87]
	v_fmac_f64_e32 v[92:93], v[32:33], v[128:129]
	v_add_f64 v[32:33], v[58:59], v[84:85]
	s_waitcnt vmcnt(5)
	v_mul_f64 v[28:29], v[48:49], v[142:143]
	s_waitcnt vmcnt(4)
	v_mul_f64 v[26:27], v[44:45], v[146:147]
	v_fma_f64 v[90:91], v[42:43], v[144:145], -v[26:27]
	v_fma_f64 v[94:95], v[46:47], v[140:141], -v[28:29]
	v_add_f64 v[28:29], v[38:39], v[54:55]
	v_fmac_f64_e32 v[88:89], v[36:37], v[136:137]
	v_add_f64 v[34:35], v[38:39], -v[54:55]
	v_add_f64 v[36:37], v[56:57], v[62:63]
	v_mul_f64 v[86:87], v[42:43], v[146:147]
	s_waitcnt vmcnt(2)
	v_mul_f64 v[26:27], v[74:75], v[154:155]
	v_fma_f64 v[98:99], v[72:73], v[152:153], -v[26:27]
	v_mul_f64 v[100:101], v[72:73], v[154:155]
	v_mul_f64 v[26:27], v[52:53], v[150:151]
	v_fmac_f64_e32 v[100:101], v[74:75], v[152:153]
	v_fma_f64 v[74:75], v[50:51], v[148:149], -v[26:27]
	s_waitcnt vmcnt(1)
	v_mul_f64 v[26:27], v[78:79], v[170:171]
	v_fma_f64 v[124:125], v[76:77], v[168:169], -v[26:27]
	s_waitcnt vmcnt(0)
	v_mul_f64 v[26:27], v[82:83], v[162:163]
	v_fma_f64 v[132:133], v[80:81], v[160:161], -v[26:27]
	v_add_f64 v[26:27], v[22:23], v[38:39]
	v_fmac_f64_e32 v[22:23], -0.5, v[28:29]
	v_add_f64 v[28:29], v[58:59], -v[84:85]
	v_fma_f64 v[30:31], s[0:1], v[28:29], v[22:23]
	v_fmac_f64_e32 v[22:23], s[10:11], v[28:29]
	v_add_f64 v[28:29], v[24:25], v[58:59]
	v_fmac_f64_e32 v[24:25], -0.5, v[32:33]
	v_fma_f64 v[32:33], s[10:11], v[34:35], v[24:25]
	v_fmac_f64_e32 v[24:25], s[0:1], v[34:35]
	v_add_f64 v[34:35], v[12:13], v[56:57]
	v_fmac_f64_e32 v[12:13], -0.5, v[36:37]
	v_add_f64 v[36:37], v[88:89], -v[92:93]
	v_add_f64 v[38:39], v[88:89], v[92:93]
	v_fma_f64 v[42:43], s[0:1], v[36:37], v[12:13]
	v_fmac_f64_e32 v[12:13], s[10:11], v[36:37]
	v_add_f64 v[36:37], v[14:15], v[88:89]
	v_fmac_f64_e32 v[14:15], -0.5, v[38:39]
	v_add_f64 v[38:39], v[56:57], -v[62:63]
	v_fmac_f64_e32 v[86:87], v[44:45], v[144:145]
	v_mul_f64 v[96:97], v[46:47], v[142:143]
	v_fma_f64 v[44:45], s[10:11], v[38:39], v[14:15]
	v_fmac_f64_e32 v[14:15], s[0:1], v[38:39]
	v_add_f64 v[38:39], v[8:9], v[90:91]
	v_fmac_f64_e32 v[96:97], v[48:49], v[140:141]
	v_add_f64 v[46:47], v[38:39], v[94:95]
	v_add_f64 v[38:39], v[90:91], v[94:95]
	v_fmac_f64_e32 v[8:9], -0.5, v[38:39]
	v_add_f64 v[38:39], v[86:87], -v[96:97]
	v_mul_f64 v[102:103], v[50:51], v[150:151]
	v_fma_f64 v[50:51], s[0:1], v[38:39], v[8:9]
	v_fmac_f64_e32 v[8:9], s[10:11], v[38:39]
	v_add_f64 v[38:39], v[10:11], v[86:87]
	v_add_f64 v[48:49], v[38:39], v[96:97]
	;; [unrolled: 1-line block ×3, first 2 shown]
	v_fmac_f64_e32 v[10:11], -0.5, v[38:39]
	v_add_f64 v[38:39], v[90:91], -v[94:95]
	v_fmac_f64_e32 v[102:103], v[52:53], v[148:149]
	v_fma_f64 v[52:53], s[10:11], v[38:39], v[10:11]
	v_fmac_f64_e32 v[10:11], s[0:1], v[38:39]
	v_add_f64 v[38:39], v[4:5], v[98:99]
	v_add_f64 v[26:27], v[26:27], v[54:55]
	;; [unrolled: 1-line block ×4, first 2 shown]
	v_fmac_f64_e32 v[4:5], -0.5, v[38:39]
	v_add_f64 v[38:39], v[100:101], -v[102:103]
	v_fma_f64 v[72:73], s[0:1], v[38:39], v[4:5]
	v_fmac_f64_e32 v[4:5], s[10:11], v[38:39]
	v_add_f64 v[38:39], v[6:7], v[100:101]
	v_add_f64 v[56:57], v[38:39], v[102:103]
	;; [unrolled: 1-line block ×3, first 2 shown]
	v_fmac_f64_e32 v[6:7], -0.5, v[38:39]
	v_add_f64 v[38:39], v[98:99], -v[74:75]
	v_mul_f64 v[126:127], v[76:77], v[170:171]
	v_mul_f64 v[134:135], v[80:81], v[162:163]
	v_fma_f64 v[74:75], s[10:11], v[38:39], v[6:7]
	v_fmac_f64_e32 v[6:7], s[0:1], v[38:39]
	v_add_f64 v[38:39], v[0:1], v[124:125]
	v_fmac_f64_e32 v[126:127], v[78:79], v[168:169]
	v_fmac_f64_e32 v[134:135], v[82:83], v[160:161]
	v_add_f64 v[76:77], v[38:39], v[132:133]
	v_add_f64 v[38:39], v[124:125], v[132:133]
	v_fmac_f64_e32 v[0:1], -0.5, v[38:39]
	v_add_f64 v[38:39], v[126:127], -v[134:135]
	v_fma_f64 v[80:81], s[0:1], v[38:39], v[0:1]
	v_fmac_f64_e32 v[0:1], s[10:11], v[38:39]
	v_add_f64 v[38:39], v[2:3], v[126:127]
	v_add_f64 v[78:79], v[38:39], v[134:135]
	;; [unrolled: 1-line block ×3, first 2 shown]
	v_add_lshl_u32 v126, v18, v61, 4
	v_mul_u32_u24_e32 v18, 39, v65
	v_add_f64 v[28:29], v[28:29], v[84:85]
	v_add_f64 v[34:35], v[34:35], v[62:63]
	;; [unrolled: 1-line block ×3, first 2 shown]
	v_add_lshl_u32 v122, v18, v68, 4
	ds_write_b128 v126, v[26:29]
	ds_write_b128 v126, v[30:33] offset:208
	ds_write_b128 v126, v[22:25] offset:416
	ds_write_b128 v122, v[34:37]
	ds_write_b128 v122, v[42:45] offset:208
	ds_write_b128 v122, v[12:15] offset:416
	v_mad_legacy_u16 v12, v69, 39, v71
	v_lshlrev_b32_e32 v123, 4, v12
	ds_write_b128 v123, v[46:49]
	ds_write_b128 v123, v[50:53] offset:208
	ds_write_b128 v123, v[8:11] offset:416
	v_mad_legacy_u16 v8, v104, 39, v105
	v_fmac_f64_e32 v[2:3], -0.5, v[38:39]
	v_add_f64 v[38:39], v[124:125], -v[132:133]
	v_lshlrev_b32_e32 v124, 4, v8
	ds_write_b128 v124, v[54:57]
	ds_write_b128 v124, v[72:75] offset:208
	ds_write_b128 v124, v[4:7] offset:416
	v_mad_legacy_u16 v4, v106, 39, v107
	v_lshlrev_b32_e32 v125, 4, v4
	v_fma_f64 v[82:83], s[10:11], v[38:39], v[2:3]
	v_fmac_f64_e32 v[2:3], s[0:1], v[38:39]
	ds_write_b128 v125, v[76:79]
	ds_write_b128 v125, v[80:83] offset:208
	ds_write_b128 v125, v[0:3] offset:416
	v_mul_lo_u16_sdwa v0, v216, s12 dst_sel:DWORD dst_unused:UNUSED_PAD src0_sel:BYTE_0 src1_sel:DWORD
	v_sub_u16_sdwa v1, v216, v0 dst_sel:DWORD dst_unused:UNUSED_PAD src0_sel:DWORD src1_sel:BYTE_1
	v_lshrrev_b16_e32 v1, 1, v1
	v_and_b32_e32 v1, 0x7f, v1
	v_add_u16_sdwa v0, v1, v0 dst_sel:DWORD dst_unused:UNUSED_PAD src0_sel:DWORD src1_sel:BYTE_1
	v_lshrrev_b16_e32 v0, 5, v0
	v_and_b32_e32 v21, 7, v0
	v_mul_lo_u16_e32 v0, 39, v21
	v_sub_u16_e32 v0, v216, v0
	v_and_b32_e32 v61, 0xff, v0
	v_lshlrev_b32_e32 v0, 5, v61
	s_waitcnt lgkmcnt(0)
	s_barrier
	global_load_dwordx4 v[132:135], v0, s[8:9] offset:432
	global_load_dwordx4 v[156:159], v0, s[8:9] offset:416
	v_mul_lo_u16_sdwa v0, v60, s12 dst_sel:DWORD dst_unused:UNUSED_PAD src0_sel:BYTE_0 src1_sel:DWORD
	v_sub_u16_sdwa v1, v60, v0 dst_sel:DWORD dst_unused:UNUSED_PAD src0_sel:DWORD src1_sel:BYTE_1
	v_lshrrev_b16_e32 v1, 1, v1
	v_and_b32_e32 v1, 0x7f, v1
	v_add_u16_sdwa v0, v1, v0 dst_sel:DWORD dst_unused:UNUSED_PAD src0_sel:DWORD src1_sel:BYTE_1
	v_lshrrev_b16_e32 v0, 5, v0
	v_and_b32_e32 v65, 7, v0
	v_mul_lo_u16_e32 v0, 39, v65
	v_sub_u16_e32 v0, v60, v0
	v_and_b32_e32 v68, 0xff, v0
	v_lshlrev_b32_e32 v0, 5, v68
	s_mov_b32 s12, 0xa41b
	global_load_dwordx4 v[164:167], v0, s[8:9] offset:432
	global_load_dwordx4 v[86:89], v0, s[8:9] offset:416
	v_mul_u32_u24_sdwa v0, v16, s12 dst_sel:DWORD dst_unused:UNUSED_PAD src0_sel:WORD_0 src1_sel:DWORD
	v_sub_u16_sdwa v1, v16, v0 dst_sel:DWORD dst_unused:UNUSED_PAD src0_sel:DWORD src1_sel:WORD_1
	v_lshrrev_b16_e32 v1, 1, v1
	v_add_u16_sdwa v0, v1, v0 dst_sel:DWORD dst_unused:UNUSED_PAD src0_sel:DWORD src1_sel:WORD_1
	v_lshrrev_b16_e32 v69, 5, v0
	v_mul_lo_u16_e32 v0, 39, v69
	v_sub_u16_e32 v71, v16, v0
	v_lshlrev_b16_e32 v18, 5, v71
	v_lshl_add_u64 v[0:1], s[8:9], 0, v[18:19]
	global_load_dwordx4 v[98:101], v[0:1], off offset:432
	global_load_dwordx4 v[94:97], v[0:1], off offset:416
	v_mul_u32_u24_sdwa v0, v17, s12 dst_sel:DWORD dst_unused:UNUSED_PAD src0_sel:WORD_0 src1_sel:DWORD
	v_sub_u16_sdwa v1, v17, v0 dst_sel:DWORD dst_unused:UNUSED_PAD src0_sel:DWORD src1_sel:WORD_1
	v_lshrrev_b16_e32 v1, 1, v1
	v_add_u16_sdwa v0, v1, v0 dst_sel:DWORD dst_unused:UNUSED_PAD src0_sel:DWORD src1_sel:WORD_1
	v_lshrrev_b16_e32 v104, 5, v0
	v_mul_lo_u16_e32 v0, 39, v104
	v_sub_u16_e32 v105, v17, v0
	v_lshlrev_b16_e32 v18, 5, v105
	v_lshl_add_u64 v[0:1], s[8:9], 0, v[18:19]
	global_load_dwordx4 v[108:111], v[0:1], off offset:432
	global_load_dwordx4 v[176:179], v[0:1], off offset:416
	v_mul_u32_u24_sdwa v0, v20, s12 dst_sel:DWORD dst_unused:UNUSED_PAD src0_sel:WORD_0 src1_sel:DWORD
	v_sub_u16_sdwa v1, v20, v0 dst_sel:DWORD dst_unused:UNUSED_PAD src0_sel:DWORD src1_sel:WORD_1
	v_lshrrev_b16_e32 v1, 1, v1
	v_add_u16_sdwa v0, v1, v0 dst_sel:DWORD dst_unused:UNUSED_PAD src0_sel:DWORD src1_sel:WORD_1
	v_lshrrev_b16_e32 v106, 5, v0
	v_mul_lo_u16_e32 v0, 39, v106
	v_sub_u16_e32 v107, v20, v0
	v_lshlrev_b16_e32 v18, 5, v107
	v_lshl_add_u64 v[0:1], s[8:9], 0, v[18:19]
	global_load_dwordx4 v[180:183], v[0:1], off offset:416
	global_load_dwordx4 v[184:187], v[0:1], off offset:432
	ds_read_b128 v[22:25], v64
	ds_read_b128 v[12:15], v64 offset:1872
	ds_read_b128 v[26:29], v64 offset:18720
	;; [unrolled: 1-line block ×14, first 2 shown]
	s_movk_i32 s12, 0x75
	v_mul_u32_u24_sdwa v18, v21, s12 dst_sel:DWORD dst_unused:UNUSED_PAD src0_sel:WORD_0 src1_sel:DWORD
	v_add_lshl_u32 v127, v18, v61, 4
	v_mul_u32_u24_sdwa v18, v65, s12 dst_sel:DWORD dst_unused:UNUSED_PAD src0_sel:WORD_0 src1_sel:DWORD
	v_add_lshl_u32 v172, v18, v68, 4
	s_waitcnt lgkmcnt(0)
	s_barrier
	s_waitcnt vmcnt(9)
	v_mul_f64 v[58:59], v[26:27], v[134:135]
	s_waitcnt vmcnt(8)
	v_mul_f64 v[38:39], v[56:57], v[158:159]
	v_fma_f64 v[38:39], v[54:55], v[156:157], -v[38:39]
	v_mul_f64 v[54:55], v[54:55], v[158:159]
	v_fmac_f64_e32 v[54:55], v[56:57], v[156:157]
	v_mul_f64 v[56:57], v[28:29], v[134:135]
	v_fma_f64 v[56:57], v[26:27], v[132:133], -v[56:57]
	v_fmac_f64_e32 v[58:59], v[28:29], v[132:133]
	v_add_f64 v[28:29], v[38:39], v[56:57]
	s_waitcnt vmcnt(6)
	v_mul_f64 v[26:27], v[36:37], v[88:89]
	v_fma_f64 v[62:63], v[34:35], v[86:87], -v[26:27]
	v_mul_f64 v[84:85], v[34:35], v[88:89]
	v_accvgpr_write_b32 a117, v89
	v_mul_f64 v[26:27], v[32:33], v[166:167]
	v_accvgpr_write_b32 a116, v88
	v_accvgpr_write_b32 a115, v87
	;; [unrolled: 1-line block ×3, first 2 shown]
	v_fmac_f64_e32 v[84:85], v[36:37], v[86:87]
	v_fma_f64 v[86:87], v[30:31], v[164:165], -v[26:27]
	s_waitcnt vmcnt(4)
	v_mul_f64 v[26:27], v[44:45], v[96:97]
	v_fma_f64 v[90:91], v[42:43], v[94:95], -v[26:27]
	v_mul_f64 v[92:93], v[42:43], v[96:97]
	v_accvgpr_write_b32 a125, v97
	v_mul_f64 v[26:27], v[48:49], v[100:101]
	v_accvgpr_write_b32 a124, v96
	v_accvgpr_write_b32 a123, v95
	v_accvgpr_write_b32 a122, v94
	v_fmac_f64_e32 v[92:93], v[44:45], v[94:95]
	v_fma_f64 v[94:95], v[46:47], v[98:99], -v[26:27]
	v_mul_f64 v[96:97], v[46:47], v[100:101]
	v_accvgpr_write_b32 a121, v101
	s_waitcnt vmcnt(2)
	v_mul_f64 v[26:27], v[74:75], v[178:179]
	v_accvgpr_write_b32 a120, v100
	v_accvgpr_write_b32 a119, v99
	v_accvgpr_write_b32 a118, v98
	v_fmac_f64_e32 v[96:97], v[48:49], v[98:99]
	v_fma_f64 v[98:99], v[72:73], v[176:177], -v[26:27]
	v_mul_f64 v[100:101], v[72:73], v[178:179]
	v_mul_f64 v[26:27], v[52:53], v[110:111]
	v_accvgpr_write_b32 a130, v176
	v_fmac_f64_e32 v[100:101], v[74:75], v[176:177]
	v_fma_f64 v[74:75], v[50:51], v[108:109], -v[26:27]
	s_waitcnt vmcnt(1)
	v_mul_f64 v[26:27], v[78:79], v[182:183]
	v_mul_f64 v[88:89], v[30:31], v[166:167]
	v_accvgpr_write_b32 a131, v177
	v_accvgpr_write_b32 a132, v178
	;; [unrolled: 1-line block ×3, first 2 shown]
	v_fma_f64 v[176:177], v[76:77], v[180:181], -v[26:27]
	v_mul_f64 v[178:179], v[76:77], v[182:183]
	v_accvgpr_write_b32 a138, v180
	s_waitcnt vmcnt(0)
	v_mul_f64 v[26:27], v[82:83], v[186:187]
	v_fmac_f64_e32 v[88:89], v[32:33], v[164:165]
	v_accvgpr_write_b32 a139, v181
	v_accvgpr_write_b32 a140, v182
	;; [unrolled: 1-line block ×3, first 2 shown]
	v_fmac_f64_e32 v[178:179], v[78:79], v[180:181]
	v_fma_f64 v[180:181], v[80:81], v[184:185], -v[26:27]
	v_add_f64 v[26:27], v[22:23], v[38:39]
	v_fmac_f64_e32 v[22:23], -0.5, v[28:29]
	v_add_f64 v[28:29], v[54:55], -v[58:59]
	v_add_f64 v[32:33], v[54:55], v[58:59]
	v_fma_f64 v[30:31], s[0:1], v[28:29], v[22:23]
	v_fmac_f64_e32 v[22:23], s[10:11], v[28:29]
	v_add_f64 v[28:29], v[24:25], v[54:55]
	v_fmac_f64_e32 v[24:25], -0.5, v[32:33]
	v_add_f64 v[34:35], v[38:39], -v[56:57]
	v_add_f64 v[36:37], v[62:63], v[86:87]
	v_fma_f64 v[32:33], s[10:11], v[34:35], v[24:25]
	v_fmac_f64_e32 v[24:25], s[0:1], v[34:35]
	;; [unrolled: 6-line block ×3, first 2 shown]
	v_add_f64 v[36:37], v[14:15], v[84:85]
	v_fmac_f64_e32 v[14:15], -0.5, v[38:39]
	v_add_f64 v[38:39], v[62:63], -v[86:87]
	v_fma_f64 v[44:45], s[10:11], v[38:39], v[14:15]
	v_fmac_f64_e32 v[14:15], s[0:1], v[38:39]
	v_add_f64 v[38:39], v[8:9], v[90:91]
	v_add_f64 v[46:47], v[38:39], v[94:95]
	;; [unrolled: 1-line block ×3, first 2 shown]
	v_fmac_f64_e32 v[8:9], -0.5, v[38:39]
	v_add_f64 v[38:39], v[92:93], -v[96:97]
	v_mul_f64 v[102:103], v[50:51], v[110:111]
	v_fma_f64 v[50:51], s[0:1], v[38:39], v[8:9]
	v_fmac_f64_e32 v[8:9], s[10:11], v[38:39]
	v_add_f64 v[38:39], v[10:11], v[92:93]
	v_add_f64 v[48:49], v[38:39], v[96:97]
	;; [unrolled: 1-line block ×3, first 2 shown]
	v_fmac_f64_e32 v[10:11], -0.5, v[38:39]
	v_add_f64 v[38:39], v[90:91], -v[94:95]
	v_fmac_f64_e32 v[102:103], v[52:53], v[108:109]
	v_fma_f64 v[52:53], s[10:11], v[38:39], v[10:11]
	v_fmac_f64_e32 v[10:11], s[0:1], v[38:39]
	v_add_f64 v[38:39], v[4:5], v[98:99]
	v_add_f64 v[54:55], v[38:39], v[74:75]
	;; [unrolled: 1-line block ×3, first 2 shown]
	v_fmac_f64_e32 v[4:5], -0.5, v[38:39]
	v_add_f64 v[38:39], v[100:101], -v[102:103]
	v_fma_f64 v[72:73], s[0:1], v[38:39], v[4:5]
	v_fmac_f64_e32 v[4:5], s[10:11], v[38:39]
	v_add_f64 v[38:39], v[6:7], v[100:101]
	v_add_f64 v[26:27], v[26:27], v[56:57]
	;; [unrolled: 1-line block ×4, first 2 shown]
	v_fmac_f64_e32 v[6:7], -0.5, v[38:39]
	v_add_f64 v[38:39], v[98:99], -v[74:75]
	v_mul_f64 v[182:183], v[80:81], v[186:187]
	v_add_f64 v[28:29], v[28:29], v[58:59]
	v_add_f64 v[34:35], v[34:35], v[86:87]
	;; [unrolled: 1-line block ×3, first 2 shown]
	v_fma_f64 v[74:75], s[10:11], v[38:39], v[6:7]
	v_fmac_f64_e32 v[6:7], s[0:1], v[38:39]
	v_add_f64 v[38:39], v[0:1], v[176:177]
	v_fmac_f64_e32 v[182:183], v[82:83], v[184:185]
	v_add_f64 v[76:77], v[38:39], v[180:181]
	v_add_f64 v[38:39], v[176:177], v[180:181]
	ds_write_b128 v127, v[26:29]
	ds_write_b128 v127, v[30:33] offset:624
	ds_write_b128 v127, v[22:25] offset:1248
	ds_write_b128 v172, v[34:37]
	ds_write_b128 v172, v[42:45] offset:624
	ds_write_b128 v172, v[12:15] offset:1248
	v_mad_legacy_u16 v12, v69, s12, v71
	v_fmac_f64_e32 v[0:1], -0.5, v[38:39]
	v_add_f64 v[38:39], v[178:179], -v[182:183]
	v_lshlrev_b32_e32 v173, 4, v12
	v_fma_f64 v[80:81], s[0:1], v[38:39], v[0:1]
	v_fmac_f64_e32 v[0:1], s[10:11], v[38:39]
	v_add_f64 v[38:39], v[2:3], v[178:179]
	ds_write_b128 v173, v[46:49]
	ds_write_b128 v173, v[50:53] offset:624
	ds_write_b128 v173, v[8:11] offset:1248
	v_mad_legacy_u16 v8, v104, s12, v105
	v_add_f64 v[78:79], v[38:39], v[182:183]
	v_add_f64 v[38:39], v[178:179], v[182:183]
	v_lshlrev_b32_e32 v8, 4, v8
	v_fmac_f64_e32 v[2:3], -0.5, v[38:39]
	v_add_f64 v[38:39], v[176:177], -v[180:181]
	ds_write_b128 v8, v[54:57]
	ds_write_b128 v8, v[72:75] offset:624
	ds_write_b128 v8, v[4:7] offset:1248
	v_mad_legacy_u16 v4, v106, s12, v107
	v_fma_f64 v[82:83], s[10:11], v[38:39], v[2:3]
	v_fmac_f64_e32 v[2:3], s[0:1], v[38:39]
	v_lshlrev_b32_e32 v4, 4, v4
	ds_write_b128 v4, v[76:79]
	ds_write_b128 v4, v[80:83] offset:624
	ds_write_b128 v4, v[0:3] offset:1248
	v_lshlrev_b32_e32 v0, 5, v216
	s_mov_b32 s12, 0x8c09
	s_waitcnt lgkmcnt(0)
	s_barrier
	global_load_dwordx4 v[180:183], v0, s[8:9] offset:1664
	global_load_dwordx4 v[176:179], v0, s[8:9] offset:1680
	v_mul_u32_u24_sdwa v0, v16, s12 dst_sel:DWORD dst_unused:UNUSED_PAD src0_sel:WORD_0 src1_sel:DWORD
	v_lshrrev_b32_e32 v0, 22, v0
	v_mul_lo_u16_e32 v0, 0x75, v0
	v_sub_u16_e32 v61, v16, v0
	v_lshlrev_b16_e32 v18, 5, v61
	v_accvgpr_write_b32 a134, v184
	v_lshl_add_u64 v[0:1], s[8:9], 0, v[18:19]
	v_accvgpr_write_b32 a135, v185
	v_accvgpr_write_b32 a136, v186
	v_accvgpr_write_b32 a137, v187
	global_load_dwordx4 v[188:191], v[0:1], off offset:1664
	global_load_dwordx4 v[184:187], v[0:1], off offset:1680
	v_mul_u32_u24_sdwa v0, v17, s12 dst_sel:DWORD dst_unused:UNUSED_PAD src0_sel:WORD_0 src1_sel:DWORD
	v_lshrrev_b32_e32 v0, 22, v0
	v_mul_lo_u16_e32 v0, 0x75, v0
	v_sub_u16_e32 v17, v17, v0
	v_lshlrev_b16_e32 v18, 5, v17
	v_lshl_add_u64 v[0:1], s[8:9], 0, v[18:19]
	global_load_dwordx4 v[196:199], v[0:1], off offset:1664
	global_load_dwordx4 v[192:195], v[0:1], off offset:1680
	v_mul_u32_u24_sdwa v0, v20, s12 dst_sel:DWORD dst_unused:UNUSED_PAD src0_sel:WORD_0 src1_sel:DWORD
	v_lshrrev_b32_e32 v0, 22, v0
	v_mul_lo_u16_e32 v0, 0x75, v0
	v_sub_u16_e32 v65, v20, v0
	v_lshlrev_b16_e32 v18, 5, v65
	v_lshl_add_u64 v[0:1], s[8:9], 0, v[18:19]
	global_load_dwordx4 v[204:207], v[0:1], off offset:1664
	global_load_dwordx4 v[200:203], v[0:1], off offset:1680
	v_accvgpr_write_b32 a144, v8
	v_accvgpr_write_b32 a145, v4
	ds_read_b128 v[12:15], v64
	ds_read_b128 v[20:23], v64 offset:1872
	ds_read_b128 v[24:27], v64 offset:18720
	;; [unrolled: 1-line block ×14, first 2 shown]
	s_waitcnt lgkmcnt(0)
	s_barrier
	v_lshlrev_b32_e32 v65, 4, v65
	v_lshlrev_b32_e32 v18, 6, v216
	v_accvgpr_write_b32 a129, v111
	v_accvgpr_write_b32 a128, v110
	;; [unrolled: 1-line block ×4, first 2 shown]
	s_waitcnt vmcnt(7)
	v_mul_f64 v[58:59], v[52:53], v[182:183]
	v_fma_f64 v[58:59], v[50:51], v[180:181], -v[58:59]
	v_mul_f64 v[50:51], v[50:51], v[182:183]
	v_fmac_f64_e32 v[50:51], v[52:53], v[180:181]
	s_waitcnt vmcnt(6)
	v_mul_f64 v[52:53], v[26:27], v[178:179]
	v_fma_f64 v[52:53], v[24:25], v[176:177], -v[52:53]
	v_mul_f64 v[62:63], v[24:25], v[178:179]
	v_mul_f64 v[24:25], v[34:35], v[182:183]
	v_fma_f64 v[80:81], v[32:33], v[180:181], -v[24:25]
	v_mul_f64 v[24:25], v[30:31], v[178:179]
	v_fma_f64 v[84:85], v[28:29], v[176:177], -v[24:25]
	s_waitcnt vmcnt(5)
	v_mul_f64 v[24:25], v[38:39], v[190:191]
	v_fma_f64 v[88:89], v[36:37], v[188:189], -v[24:25]
	s_waitcnt vmcnt(4)
	v_mul_f64 v[24:25], v[44:45], v[186:187]
	v_fma_f64 v[92:93], v[42:43], v[184:185], -v[24:25]
	v_fmac_f64_e32 v[62:63], v[26:27], v[176:177]
	v_mul_f64 v[86:87], v[28:29], v[178:179]
	v_add_f64 v[26:27], v[58:59], v[52:53]
	s_waitcnt vmcnt(3)
	v_mul_f64 v[24:25], v[56:57], v[198:199]
	v_fma_f64 v[96:97], v[54:55], v[196:197], -v[24:25]
	v_mul_f64 v[98:99], v[54:55], v[198:199]
	s_waitcnt vmcnt(2)
	v_mul_f64 v[24:25], v[48:49], v[194:195]
	v_fmac_f64_e32 v[98:99], v[56:57], v[196:197]
	v_fma_f64 v[56:57], v[46:47], v[192:193], -v[24:25]
	v_mul_f64 v[82:83], v[32:33], v[182:183]
	s_waitcnt vmcnt(1)
	v_mul_f64 v[24:25], v[74:75], v[206:207]
	v_fma_f64 v[208:209], v[72:73], v[204:205], -v[24:25]
	s_waitcnt vmcnt(0)
	v_mul_f64 v[24:25], v[78:79], v[202:203]
	v_fmac_f64_e32 v[86:87], v[30:31], v[176:177]
	v_fma_f64 v[212:213], v[76:77], v[200:201], -v[24:25]
	v_add_f64 v[24:25], v[12:13], v[58:59]
	v_fmac_f64_e32 v[12:13], -0.5, v[26:27]
	v_add_f64 v[26:27], v[50:51], -v[62:63]
	v_add_f64 v[30:31], v[50:51], v[62:63]
	v_fmac_f64_e32 v[82:83], v[34:35], v[180:181]
	v_mul_f64 v[90:91], v[36:37], v[190:191]
	v_fma_f64 v[28:29], s[0:1], v[26:27], v[12:13]
	v_fmac_f64_e32 v[12:13], s[10:11], v[26:27]
	v_add_f64 v[26:27], v[14:15], v[50:51]
	v_fmac_f64_e32 v[14:15], -0.5, v[30:31]
	v_add_f64 v[32:33], v[58:59], -v[52:53]
	v_add_f64 v[34:35], v[80:81], v[84:85]
	v_fmac_f64_e32 v[90:91], v[38:39], v[188:189]
	v_mul_f64 v[94:95], v[42:43], v[186:187]
	v_fma_f64 v[30:31], s[10:11], v[32:33], v[14:15]
	v_fmac_f64_e32 v[14:15], s[0:1], v[32:33]
	;; [unrolled: 8-line block ×3, first 2 shown]
	v_add_f64 v[34:35], v[22:23], v[82:83]
	v_fmac_f64_e32 v[22:23], -0.5, v[38:39]
	v_add_f64 v[42:43], v[80:81], -v[84:85]
	v_add_f64 v[44:45], v[88:89], v[92:93]
	v_fmac_f64_e32 v[100:101], v[48:49], v[192:193]
	v_fma_f64 v[38:39], s[10:11], v[42:43], v[22:23]
	v_fmac_f64_e32 v[22:23], s[0:1], v[42:43]
	v_add_f64 v[42:43], v[8:9], v[88:89]
	v_fmac_f64_e32 v[8:9], -0.5, v[44:45]
	v_add_f64 v[44:45], v[90:91], -v[94:95]
	v_add_f64 v[48:49], v[90:91], v[94:95]
	v_add_f64 v[24:25], v[24:25], v[52:53]
	v_fma_f64 v[46:47], s[0:1], v[44:45], v[8:9]
	v_fmac_f64_e32 v[8:9], s[10:11], v[44:45]
	v_add_f64 v[44:45], v[10:11], v[90:91]
	v_fmac_f64_e32 v[10:11], -0.5, v[48:49]
	v_add_f64 v[50:51], v[88:89], -v[92:93]
	v_add_f64 v[52:53], v[96:97], v[56:57]
	v_fma_f64 v[48:49], s[10:11], v[50:51], v[10:11]
	v_fmac_f64_e32 v[10:11], s[0:1], v[50:51]
	v_add_f64 v[50:51], v[4:5], v[96:97]
	v_fmac_f64_e32 v[4:5], -0.5, v[52:53]
	v_add_f64 v[52:53], v[98:99], -v[100:101]
	;; [unrolled: 6-line block ×3, first 2 shown]
	v_mul_f64 v[210:211], v[72:73], v[206:207]
	v_mul_f64 v[214:215], v[76:77], v[202:203]
	v_add_f64 v[50:51], v[50:51], v[56:57]
	v_fma_f64 v[56:57], s[10:11], v[58:59], v[6:7]
	v_fmac_f64_e32 v[6:7], s[0:1], v[58:59]
	v_add_f64 v[58:59], v[0:1], v[208:209]
	v_fmac_f64_e32 v[210:211], v[74:75], v[204:205]
	v_fmac_f64_e32 v[214:215], v[78:79], v[200:201]
	v_add_f64 v[72:73], v[58:59], v[212:213]
	v_add_f64 v[58:59], v[208:209], v[212:213]
	v_fmac_f64_e32 v[0:1], -0.5, v[58:59]
	v_add_f64 v[58:59], v[210:211], -v[214:215]
	v_add_f64 v[26:27], v[26:27], v[62:63]
	v_fma_f64 v[76:77], s[0:1], v[58:59], v[0:1]
	v_fmac_f64_e32 v[0:1], s[10:11], v[58:59]
	v_add_f64 v[58:59], v[2:3], v[210:211]
	v_add_f64 v[32:33], v[32:33], v[84:85]
	;; [unrolled: 1-line block ×7, first 2 shown]
	ds_write_b128 v64, v[24:27]
	ds_write_b128 v64, v[28:31] offset:1872
	ds_write_b128 v64, v[12:15] offset:3744
	;; [unrolled: 1-line block ×5, first 2 shown]
	v_lshlrev_b32_e32 v12, 4, v61
	v_add_f64 v[52:53], v[52:53], v[100:101]
	v_fmac_f64_e32 v[2:3], -0.5, v[58:59]
	v_add_f64 v[58:59], v[208:209], -v[212:213]
	ds_write_b128 v12, v[42:45] offset:11232
	ds_write_b128 v12, v[46:49] offset:13104
	;; [unrolled: 1-line block ×3, first 2 shown]
	v_lshlrev_b32_e32 v8, 4, v17
	v_fma_f64 v[78:79], s[10:11], v[58:59], v[2:3]
	v_fmac_f64_e32 v[2:3], s[0:1], v[58:59]
	ds_write_b128 v8, v[50:53] offset:16848
	ds_write_b128 v8, v[54:57] offset:18720
	;; [unrolled: 1-line block ×6, first 2 shown]
	v_lshl_add_u64 v[0:1], s[8:9], 0, v[18:19]
	v_add_co_u32_e64 v2, s[0:1], s16, v0
	s_mov_b64 s[10:11], 0x1520
	s_nop 0
	v_addc_co_u32_e64 v3, s[0:1], 0, v1, s[0:1]
	v_lshl_add_u64 v[0:1], v[0:1], 0, s[10:11]
	v_lshlrev_b32_e32 v18, 6, v60
	s_waitcnt lgkmcnt(0)
	s_barrier
	global_load_dwordx4 v[208:211], v[2:3], off offset:1312
	global_load_dwordx4 v[220:223], v[0:1], off offset:16
	;; [unrolled: 1-line block ×4, first 2 shown]
	v_lshl_add_u64 v[0:1], s[8:9], 0, v[18:19]
	v_add_co_u32_e64 v2, s[0:1], s16, v0
	v_lshlrev_b32_e32 v18, 6, v16
	s_nop 0
	v_addc_co_u32_e64 v3, s[0:1], 0, v1, s[0:1]
	v_lshl_add_u64 v[0:1], v[0:1], 0, s[10:11]
	global_load_dwordx4 v[224:227], v[2:3], off offset:1312
	global_load_dwordx4 v[236:239], v[0:1], off offset:16
	;; [unrolled: 1-line block ×4, first 2 shown]
	v_lshl_add_u64 v[0:1], s[8:9], 0, v[18:19]
	v_add_co_u32_e64 v2, s[0:1], s16, v0
	v_accvgpr_write_b32 a146, v12
	s_nop 0
	v_addc_co_u32_e64 v3, s[0:1], 0, v1, s[0:1]
	global_load_dwordx4 v[240:243], v[2:3], off offset:1312
	v_lshl_add_u64 v[0:1], v[0:1], 0, s[10:11]
	global_load_dwordx4 v[252:255], v[0:1], off offset:16
	global_load_dwordx4 v[248:251], v[0:1], off offset:32
	;; [unrolled: 1-line block ×3, first 2 shown]
	v_accvgpr_write_b32 a147, v8
	ds_read_b128 v[12:15], v64
	ds_read_b128 v[8:11], v64 offset:1872
	ds_read_b128 v[4:7], v64 offset:11232
	;; [unrolled: 1-line block ×14, first 2 shown]
	s_mov_b32 s0, 0x134454ff
	s_mov_b32 s1, 0x3fee6f0e
	;; [unrolled: 1-line block ×8, first 2 shown]
	s_waitcnt vmcnt(10) lgkmcnt(12)
	v_mul_f64 v[86:87], v[4:5], v[222:223]
	s_waitcnt lgkmcnt(8)
	v_mul_f64 v[54:55], v[30:31], v[210:211]
	v_fma_f64 v[80:81], v[28:29], v[208:209], -v[54:55]
	v_mul_f64 v[82:83], v[28:29], v[210:211]
	v_mul_f64 v[28:29], v[6:7], v[222:223]
	v_fmac_f64_e32 v[86:87], v[6:7], v[220:221]
	v_fma_f64 v[84:85], v[4:5], v[220:221], -v[28:29]
	s_waitcnt vmcnt(9) lgkmcnt(4)
	v_mul_f64 v[4:5], v[38:39], v[218:219]
	v_fma_f64 v[88:89], v[36:37], v[216:217], -v[4:5]
	s_waitcnt vmcnt(6)
	v_mul_f64 v[6:7], v[18:19], v[238:239]
	v_fma_f64 v[62:63], v[16:17], v[236:237], -v[6:7]
	v_mul_f64 v[6:7], v[16:17], v[238:239]
	s_waitcnt vmcnt(5) lgkmcnt(2)
	v_mul_f64 v[16:17], v[52:53], v[234:235]
	v_fma_f64 v[94:95], v[50:51], v[232:233], -v[16:17]
	s_waitcnt vmcnt(4)
	v_mul_f64 v[16:17], v[26:27], v[230:231]
	v_fma_f64 v[96:97], v[24:25], v[228:229], -v[16:17]
	v_mul_f64 v[58:59], v[50:51], v[234:235]
	v_fmac_f64_e32 v[58:59], v[52:53], v[232:233]
	s_waitcnt vmcnt(3)
	v_mul_f64 v[16:17], v[44:45], v[242:243]
	v_fma_f64 v[50:51], v[42:43], v[240:241], -v[16:17]
	s_waitcnt vmcnt(2)
	v_mul_f64 v[16:17], v[48:49], v[254:255]
	v_fma_f64 v[52:53], v[46:47], v[252:253], -v[16:17]
	s_waitcnt vmcnt(1) lgkmcnt(1)
	v_mul_f64 v[16:17], v[74:75], v[250:251]
	v_mul_f64 v[4:5], v[22:23], v[214:215]
	;; [unrolled: 1-line block ×3, first 2 shown]
	v_fma_f64 v[54:55], v[72:73], v[248:249], -v[16:17]
	s_waitcnt vmcnt(0) lgkmcnt(0)
	v_mul_f64 v[16:17], v[78:79], v[246:247]
	v_fmac_f64_e32 v[82:83], v[30:31], v[208:209]
	v_mul_f64 v[36:37], v[36:37], v[218:219]
	v_fma_f64 v[90:91], v[20:21], v[212:213], -v[4:5]
	v_fmac_f64_e32 v[92:93], v[22:23], v[212:213]
	v_fma_f64 v[56:57], v[76:77], v[244:245], -v[16:17]
	v_add_f64 v[16:17], v[84:85], v[88:89]
	v_fmac_f64_e32 v[36:37], v[38:39], v[216:217]
	v_fmac_f64_e32 v[6:7], v[18:19], v[236:237]
	v_mul_f64 v[60:61], v[24:25], v[230:231]
	v_fma_f64 v[16:17], -0.5, v[16:17], v[12:13]
	v_add_f64 v[18:19], v[82:83], -v[92:93]
	v_add_f64 v[20:21], v[80:81], -v[84:85]
	;; [unrolled: 1-line block ×3, first 2 shown]
	v_fmac_f64_e32 v[60:61], v[26:27], v[228:229]
	v_add_f64 v[22:23], v[20:21], v[22:23]
	v_fma_f64 v[20:21], s[0:1], v[18:19], v[16:17]
	v_add_f64 v[26:27], v[86:87], -v[36:37]
	v_fmac_f64_e32 v[16:17], s[12:13], v[18:19]
	v_fmac_f64_e32 v[20:21], s[8:9], v[26:27]
	;; [unrolled: 1-line block ×3, first 2 shown]
	v_add_f64 v[24:25], v[80:81], v[90:91]
	v_fmac_f64_e32 v[20:21], s[10:11], v[22:23]
	v_fmac_f64_e32 v[16:17], s[10:11], v[22:23]
	v_add_f64 v[22:23], v[12:13], v[80:81]
	v_fmac_f64_e32 v[12:13], -0.5, v[24:25]
	v_add_f64 v[24:25], v[84:85], -v[80:81]
	v_add_f64 v[28:29], v[88:89], -v[90:91]
	v_add_f64 v[28:29], v[24:25], v[28:29]
	v_fma_f64 v[24:25], s[12:13], v[26:27], v[12:13]
	v_fmac_f64_e32 v[12:13], s[0:1], v[26:27]
	v_fmac_f64_e32 v[24:25], s[8:9], v[18:19]
	;; [unrolled: 1-line block ×3, first 2 shown]
	v_add_f64 v[18:19], v[22:23], v[84:85]
	v_add_f64 v[22:23], v[14:15], v[82:83]
	;; [unrolled: 1-line block ×4, first 2 shown]
	v_mul_f64 v[4:5], v[34:35], v[226:227]
	v_fmac_f64_e32 v[24:25], s[10:11], v[28:29]
	v_fmac_f64_e32 v[12:13], s[10:11], v[28:29]
	v_add_f64 v[22:23], v[22:23], v[36:37]
	v_add_f64 v[28:29], v[18:19], v[90:91]
	;; [unrolled: 1-line block ×3, first 2 shown]
	v_fma_f64 v[38:39], v[32:33], v[224:225], -v[4:5]
	v_mul_f64 v[4:5], v[32:33], v[226:227]
	v_add_f64 v[30:31], v[22:23], v[92:93]
	v_fma_f64 v[18:19], -0.5, v[18:19], v[14:15]
	v_add_f64 v[32:33], v[80:81], -v[90:91]
	v_add_f64 v[22:23], v[82:83], -v[86:87]
	;; [unrolled: 1-line block ×3, first 2 shown]
	v_fmac_f64_e32 v[4:5], v[34:35], v[224:225]
	v_add_f64 v[34:35], v[84:85], -v[88:89]
	v_add_f64 v[26:27], v[22:23], v[26:27]
	v_fma_f64 v[22:23], s[12:13], v[32:33], v[18:19]
	v_fmac_f64_e32 v[18:19], s[0:1], v[32:33]
	v_fmac_f64_e32 v[22:23], s[14:15], v[34:35]
	;; [unrolled: 1-line block ×5, first 2 shown]
	v_add_f64 v[26:27], v[82:83], v[92:93]
	v_mul_f64 v[42:43], v[42:43], v[242:243]
	v_fmac_f64_e32 v[14:15], -0.5, v[26:27]
	v_fmac_f64_e32 v[42:43], v[44:45], v[240:241]
	v_mul_f64 v[44:45], v[46:47], v[254:255]
	v_mul_f64 v[46:47], v[72:73], v[250:251]
	v_fma_f64 v[26:27], s[0:1], v[34:35], v[14:15]
	v_add_f64 v[72:73], v[86:87], -v[82:83]
	v_add_f64 v[36:37], v[36:37], -v[92:93]
	v_fmac_f64_e32 v[14:15], s[12:13], v[34:35]
	v_fmac_f64_e32 v[26:27], s[14:15], v[32:33]
	v_add_f64 v[36:37], v[72:73], v[36:37]
	v_fmac_f64_e32 v[14:15], s[8:9], v[32:33]
	v_add_f64 v[32:33], v[62:63], v[94:95]
	v_fmac_f64_e32 v[26:27], s[10:11], v[36:37]
	v_fmac_f64_e32 v[14:15], s[10:11], v[36:37]
	v_fma_f64 v[32:33], -0.5, v[32:33], v[8:9]
	v_add_f64 v[34:35], v[4:5], -v[60:61]
	v_add_f64 v[36:37], v[38:39], -v[62:63]
	;; [unrolled: 1-line block ×3, first 2 shown]
	v_fmac_f64_e32 v[46:47], v[74:75], v[248:249]
	v_add_f64 v[72:73], v[36:37], v[72:73]
	v_fma_f64 v[36:37], s[0:1], v[34:35], v[32:33]
	v_add_f64 v[74:75], v[6:7], -v[58:59]
	v_fmac_f64_e32 v[32:33], s[12:13], v[34:35]
	v_fmac_f64_e32 v[36:37], s[8:9], v[74:75]
	;; [unrolled: 1-line block ×4, first 2 shown]
	v_mul_f64 v[48:49], v[76:77], v[246:247]
	v_fmac_f64_e32 v[36:37], s[10:11], v[72:73]
	v_fmac_f64_e32 v[32:33], s[10:11], v[72:73]
	v_add_f64 v[72:73], v[38:39], v[96:97]
	v_fmac_f64_e32 v[48:49], v[78:79], v[244:245]
	v_add_f64 v[76:77], v[8:9], v[38:39]
	v_fmac_f64_e32 v[8:9], -0.5, v[72:73]
	v_add_f64 v[72:73], v[62:63], -v[38:39]
	v_add_f64 v[78:79], v[94:95], -v[96:97]
	v_add_f64 v[78:79], v[72:73], v[78:79]
	v_fma_f64 v[72:73], s[12:13], v[74:75], v[8:9]
	v_fmac_f64_e32 v[8:9], s[0:1], v[74:75]
	v_fmac_f64_e32 v[72:73], s[8:9], v[34:35]
	;; [unrolled: 1-line block ×3, first 2 shown]
	v_add_f64 v[34:35], v[76:77], v[62:63]
	v_add_f64 v[74:75], v[10:11], v[4:5]
	;; [unrolled: 1-line block ×7, first 2 shown]
	v_fmac_f64_e32 v[72:73], s[10:11], v[78:79]
	v_fmac_f64_e32 v[8:9], s[10:11], v[78:79]
	v_add_f64 v[78:79], v[74:75], v[60:61]
	v_fma_f64 v[34:35], -0.5, v[34:35], v[10:11]
	v_add_f64 v[80:81], v[38:39], -v[96:97]
	v_add_f64 v[38:39], v[4:5], -v[6:7]
	;; [unrolled: 1-line block ×4, first 2 shown]
	v_add_f64 v[74:75], v[38:39], v[74:75]
	v_fma_f64 v[38:39], s[12:13], v[80:81], v[34:35]
	v_fmac_f64_e32 v[34:35], s[0:1], v[80:81]
	v_fmac_f64_e32 v[38:39], s[14:15], v[62:63]
	;; [unrolled: 1-line block ×5, first 2 shown]
	v_add_f64 v[74:75], v[4:5], v[60:61]
	v_fmac_f64_e32 v[10:11], -0.5, v[74:75]
	v_fma_f64 v[74:75], s[0:1], v[62:63], v[10:11]
	v_add_f64 v[4:5], v[6:7], -v[4:5]
	v_add_f64 v[6:7], v[58:59], -v[60:61]
	v_fmac_f64_e32 v[10:11], s[12:13], v[62:63]
	v_fmac_f64_e32 v[74:75], s[14:15], v[80:81]
	v_add_f64 v[4:5], v[4:5], v[6:7]
	v_fmac_f64_e32 v[10:11], s[8:9], v[80:81]
	v_fmac_f64_e32 v[74:75], s[10:11], v[4:5]
	;; [unrolled: 1-line block ×3, first 2 shown]
	v_add_f64 v[4:5], v[52:53], v[54:55]
	v_fma_f64 v[4:5], -0.5, v[4:5], v[0:1]
	v_add_f64 v[6:7], v[42:43], -v[48:49]
	v_add_f64 v[58:59], v[50:51], -v[52:53]
	;; [unrolled: 1-line block ×3, first 2 shown]
	v_add_f64 v[60:61], v[58:59], v[60:61]
	v_fma_f64 v[58:59], s[0:1], v[6:7], v[4:5]
	v_add_f64 v[62:63], v[44:45], -v[46:47]
	v_fmac_f64_e32 v[4:5], s[12:13], v[6:7]
	v_fmac_f64_e32 v[58:59], s[8:9], v[62:63]
	;; [unrolled: 1-line block ×3, first 2 shown]
	v_add_f64 v[80:81], v[50:51], v[56:57]
	v_fmac_f64_e32 v[58:59], s[10:11], v[60:61]
	v_fmac_f64_e32 v[4:5], s[10:11], v[60:61]
	v_add_f64 v[60:61], v[0:1], v[50:51]
	v_fmac_f64_e32 v[0:1], -0.5, v[80:81]
	v_add_f64 v[80:81], v[52:53], -v[50:51]
	v_add_f64 v[82:83], v[54:55], -v[56:57]
	v_add_f64 v[82:83], v[80:81], v[82:83]
	v_fma_f64 v[80:81], s[12:13], v[62:63], v[0:1]
	v_fmac_f64_e32 v[0:1], s[0:1], v[62:63]
	v_fmac_f64_e32 v[80:81], s[8:9], v[6:7]
	;; [unrolled: 1-line block ×3, first 2 shown]
	v_add_f64 v[6:7], v[60:61], v[52:53]
	v_add_f64 v[6:7], v[6:7], v[54:55]
	;; [unrolled: 1-line block ×7, first 2 shown]
	v_fma_f64 v[6:7], -0.5, v[6:7], v[2:3]
	v_add_f64 v[50:51], v[50:51], -v[56:57]
	v_add_f64 v[86:87], v[60:61], v[48:49]
	v_add_f64 v[52:53], v[52:53], -v[54:55]
	v_add_f64 v[54:55], v[42:43], -v[44:45]
	;; [unrolled: 1-line block ×3, first 2 shown]
	v_fma_f64 v[60:61], s[12:13], v[50:51], v[6:7]
	v_fmac_f64_e32 v[6:7], s[0:1], v[50:51]
	v_add_f64 v[54:55], v[54:55], v[56:57]
	v_fmac_f64_e32 v[60:61], s[14:15], v[52:53]
	v_fmac_f64_e32 v[6:7], s[8:9], v[52:53]
	v_fmac_f64_e32 v[60:61], s[10:11], v[54:55]
	v_fmac_f64_e32 v[6:7], s[10:11], v[54:55]
	v_add_f64 v[54:55], v[42:43], v[48:49]
	v_fmac_f64_e32 v[2:3], -0.5, v[54:55]
	v_fmac_f64_e32 v[80:81], s[10:11], v[82:83]
	v_fmac_f64_e32 v[0:1], s[10:11], v[82:83]
	v_fma_f64 v[82:83], s[0:1], v[52:53], v[2:3]
	v_add_f64 v[42:43], v[44:45], -v[42:43]
	v_add_f64 v[44:45], v[46:47], -v[48:49]
	v_fmac_f64_e32 v[2:3], s[12:13], v[52:53]
	v_fmac_f64_e32 v[82:83], s[14:15], v[50:51]
	v_add_f64 v[42:43], v[42:43], v[44:45]
	v_fmac_f64_e32 v[2:3], s[8:9], v[50:51]
	v_fmac_f64_e32 v[82:83], s[10:11], v[42:43]
	;; [unrolled: 1-line block ×3, first 2 shown]
	s_movk_i32 s10, 0x6000
	ds_write_b128 v64, v[28:31]
	ds_write_b128 v64, v[20:23] offset:5616
	ds_write_b128 v64, v[24:27] offset:11232
	;; [unrolled: 1-line block ×14, first 2 shown]
	v_add_co_u32_e64 v8, s[0:1], s10, v40
	s_waitcnt lgkmcnt(0)
	s_nop 0
	v_addc_co_u32_e64 v9, s[0:1], 0, v41, s[0:1]
	s_barrier
	global_load_dwordx4 v[8:11], v[8:9], off offset:3504
	s_mov_b64 s[0:1], 0x6db0
	v_lshl_add_u64 v[36:37], v[40:41], 0, s[0:1]
	global_load_dwordx4 v[12:15], v[36:37], off offset:2160
	s_movk_i32 s0, 0x7000
	v_add_co_u32_e64 v16, s[0:1], s0, v40
	s_nop 1
	v_addc_co_u32_e64 v17, s[0:1], 0, v41, s[0:1]
	global_load_dwordx4 v[16:19], v[16:17], off offset:3728
	s_mov_b32 s0, 0x8000
	v_add_co_u32_e64 v24, s[0:1], s0, v40
	s_nop 1
	v_addc_co_u32_e64 v25, s[0:1], 0, v41, s[0:1]
	global_load_dwordx4 v[20:23], v[24:25], off offset:1792
	s_nop 0
	global_load_dwordx4 v[24:27], v[24:25], off offset:3952
	s_mov_b32 s0, 0x9000
	v_add_co_u32_e64 v28, s[0:1], s0, v40
	s_nop 1
	v_addc_co_u32_e64 v29, s[0:1], 0, v41, s[0:1]
	global_load_dwordx4 v[28:31], v[28:29], off offset:2016
	s_mov_b32 s0, 0xa000
	v_add_co_u32_e64 v38, s[0:1], s0, v40
	s_nop 1
	v_addc_co_u32_e64 v39, s[0:1], 0, v41, s[0:1]
	global_load_dwordx4 v[32:35], v[38:39], off offset:80
	global_load_dwordx4 v[42:45], v[38:39], off offset:2240
	s_mov_b32 s0, 0xb000
	v_add_co_u32_e64 v38, s[0:1], s0, v40
	s_nop 1
	v_addc_co_u32_e64 v39, s[0:1], 0, v41, s[0:1]
	global_load_dwordx4 v[46:49], v[38:39], off offset:304
	;; [unrolled: 6-line block ×4, first 2 shown]
	ds_read_b128 v[72:75], v64
	ds_read_b128 v[76:79], v64 offset:2160
	s_waitcnt vmcnt(12) lgkmcnt(1)
	v_mul_f64 v[62:63], v[74:75], v[10:11]
	v_mul_f64 v[82:83], v[72:73], v[10:11]
	v_fma_f64 v[80:81], v[72:73], v[8:9], -v[62:63]
	v_fmac_f64_e32 v[82:83], v[74:75], v[8:9]
	ds_read_b128 v[72:75], v64 offset:4320
	s_waitcnt vmcnt(11) lgkmcnt(1)
	v_mul_f64 v[8:9], v[78:79], v[14:15]
	v_mul_f64 v[10:11], v[76:77], v[14:15]
	v_fma_f64 v[8:9], v[76:77], v[12:13], -v[8:9]
	v_fmac_f64_e32 v[10:11], v[78:79], v[12:13]
	ds_write_b128 v64, v[8:11] offset:2160
	ds_read_b128 v[8:11], v64 offset:6480
	s_waitcnt vmcnt(10) lgkmcnt(2)
	v_mul_f64 v[12:13], v[74:75], v[18:19]
	v_mul_f64 v[14:15], v[72:73], v[18:19]
	v_fma_f64 v[12:13], v[72:73], v[16:17], -v[12:13]
	v_fmac_f64_e32 v[14:15], v[74:75], v[16:17]
	ds_read_b128 v[16:19], v64 offset:8640
	ds_write_b128 v64, v[12:15] offset:4320
	s_waitcnt vmcnt(9) lgkmcnt(2)
	v_mul_f64 v[12:13], v[10:11], v[22:23]
	v_mul_f64 v[14:15], v[8:9], v[22:23]
	v_fma_f64 v[12:13], v[8:9], v[20:21], -v[12:13]
	v_fmac_f64_e32 v[14:15], v[10:11], v[20:21]
	ds_read_b128 v[8:11], v64 offset:10800
	ds_write_b128 v64, v[12:15] offset:6480
	;; [unrolled: 7-line block ×8, first 2 shown]
	s_waitcnt vmcnt(2) lgkmcnt(3)
	v_mul_f64 v[12:13], v[18:19], v[56:57]
	v_mul_f64 v[14:15], v[16:17], v[56:57]
	v_fma_f64 v[12:13], v[16:17], v[54:55], -v[12:13]
	v_fmac_f64_e32 v[14:15], v[18:19], v[54:55]
	ds_write_b128 v64, v[12:15] offset:21600
	ds_read_b128 v[12:15], v64 offset:25920
	s_waitcnt vmcnt(1) lgkmcnt(3)
	v_mul_f64 v[16:17], v[10:11], v[60:61]
	v_mul_f64 v[18:19], v[8:9], v[60:61]
	v_fma_f64 v[16:17], v[8:9], v[58:59], -v[16:17]
	v_fmac_f64_e32 v[18:19], v[10:11], v[58:59]
	s_waitcnt vmcnt(0) lgkmcnt(0)
	v_mul_f64 v[8:9], v[14:15], v[40:41]
	v_mul_f64 v[10:11], v[12:13], v[40:41]
	v_fma_f64 v[8:9], v[12:13], v[38:39], -v[8:9]
	v_fmac_f64_e32 v[10:11], v[14:15], v[38:39]
	ds_write_b128 v64, v[80:83]
	ds_write_b128 v64, v[16:19] offset:23760
	ds_write_b128 v64, v[8:11] offset:25920
	s_and_saveexec_b64 s[8:9], vcc
	s_cbranch_execz .LBB0_9
; %bb.8:
	global_load_dwordx4 v[12:15], v[36:37], off offset:1872
	ds_read_b128 v[8:11], v64 offset:1872
	s_waitcnt vmcnt(0) lgkmcnt(0)
	v_mul_f64 v[16:17], v[10:11], v[14:15]
	v_mul_f64 v[18:19], v[8:9], v[14:15]
	v_fma_f64 v[16:17], v[8:9], v[12:13], -v[16:17]
	v_fmac_f64_e32 v[18:19], v[10:11], v[12:13]
	global_load_dwordx4 v[12:15], v[36:37], off offset:4032
	ds_read_b128 v[8:11], v64 offset:4032
	ds_write_b128 v64, v[16:19] offset:1872
	s_waitcnt vmcnt(0) lgkmcnt(1)
	v_mul_f64 v[16:17], v[10:11], v[14:15]
	v_mul_f64 v[18:19], v[8:9], v[14:15]
	v_fma_f64 v[16:17], v[8:9], v[12:13], -v[16:17]
	v_fmac_f64_e32 v[18:19], v[10:11], v[12:13]
	v_add_co_u32_e64 v12, s[0:1], s16, v36
	ds_read_b128 v[8:11], v64 offset:6192
	s_nop 0
	v_addc_co_u32_e64 v13, s[0:1], 0, v37, s[0:1]
	global_load_dwordx4 v[12:15], v[12:13], off offset:2096
	s_movk_i32 s0, 0x2000
	v_add_co_u32_e64 v20, s[0:1], s0, v36
	ds_write_b128 v64, v[16:19] offset:4032
	s_nop 0
	v_addc_co_u32_e64 v21, s[0:1], 0, v37, s[0:1]
	s_movk_i32 s0, 0x3000
	s_waitcnt vmcnt(0) lgkmcnt(1)
	v_mul_f64 v[16:17], v[10:11], v[14:15]
	v_mul_f64 v[18:19], v[8:9], v[14:15]
	v_fma_f64 v[16:17], v[8:9], v[12:13], -v[16:17]
	v_fmac_f64_e32 v[18:19], v[10:11], v[12:13]
	global_load_dwordx4 v[12:15], v[20:21], off offset:160
	ds_read_b128 v[8:11], v64 offset:8352
	ds_write_b128 v64, v[16:19] offset:6192
	s_waitcnt vmcnt(0) lgkmcnt(1)
	v_mul_f64 v[16:17], v[10:11], v[14:15]
	v_mul_f64 v[18:19], v[8:9], v[14:15]
	v_fma_f64 v[16:17], v[8:9], v[12:13], -v[16:17]
	v_fmac_f64_e32 v[18:19], v[10:11], v[12:13]
	global_load_dwordx4 v[12:15], v[20:21], off offset:2320
	ds_read_b128 v[8:11], v64 offset:10512
	v_add_co_u32_e64 v20, s[0:1], s0, v36
	ds_write_b128 v64, v[16:19] offset:8352
	s_nop 0
	v_addc_co_u32_e64 v21, s[0:1], 0, v37, s[0:1]
	s_movk_i32 s0, 0x4000
	s_waitcnt vmcnt(0) lgkmcnt(1)
	v_mul_f64 v[16:17], v[10:11], v[14:15]
	v_mul_f64 v[18:19], v[8:9], v[14:15]
	v_fma_f64 v[16:17], v[8:9], v[12:13], -v[16:17]
	v_fmac_f64_e32 v[18:19], v[10:11], v[12:13]
	global_load_dwordx4 v[12:15], v[20:21], off offset:384
	ds_read_b128 v[8:11], v64 offset:12672
	ds_write_b128 v64, v[16:19] offset:10512
	s_waitcnt vmcnt(0) lgkmcnt(1)
	v_mul_f64 v[16:17], v[10:11], v[14:15]
	v_mul_f64 v[18:19], v[8:9], v[14:15]
	v_fma_f64 v[16:17], v[8:9], v[12:13], -v[16:17]
	v_fmac_f64_e32 v[18:19], v[10:11], v[12:13]
	global_load_dwordx4 v[12:15], v[20:21], off offset:2544
	ds_read_b128 v[8:11], v64 offset:14832
	;; [unrolled: 20-line block ×3, first 2 shown]
	v_add_co_u32_e64 v20, s[0:1], s0, v36
	ds_write_b128 v64, v[16:19] offset:16992
	s_nop 0
	v_addc_co_u32_e64 v21, s[0:1], 0, v37, s[0:1]
	s_waitcnt vmcnt(0) lgkmcnt(1)
	v_mul_f64 v[16:17], v[10:11], v[14:15]
	v_mul_f64 v[18:19], v[8:9], v[14:15]
	v_fma_f64 v[16:17], v[8:9], v[12:13], -v[16:17]
	v_fmac_f64_e32 v[18:19], v[10:11], v[12:13]
	global_load_dwordx4 v[12:15], v[20:21], off offset:832
	ds_read_b128 v[8:11], v64 offset:21312
	ds_write_b128 v64, v[16:19] offset:19152
	s_waitcnt vmcnt(0) lgkmcnt(1)
	v_mul_f64 v[16:17], v[10:11], v[14:15]
	v_mul_f64 v[18:19], v[8:9], v[14:15]
	v_fma_f64 v[16:17], v[8:9], v[12:13], -v[16:17]
	v_fmac_f64_e32 v[18:19], v[10:11], v[12:13]
	global_load_dwordx4 v[12:15], v[20:21], off offset:2992
	ds_read_b128 v[8:11], v64 offset:23472
	v_add_co_u32_e64 v20, s[0:1], s10, v36
	ds_write_b128 v64, v[16:19] offset:21312
	s_nop 0
	v_addc_co_u32_e64 v21, s[0:1], 0, v37, s[0:1]
	s_waitcnt vmcnt(0) lgkmcnt(1)
	v_mul_f64 v[16:17], v[10:11], v[14:15]
	v_mul_f64 v[18:19], v[8:9], v[14:15]
	v_fma_f64 v[16:17], v[8:9], v[12:13], -v[16:17]
	v_fmac_f64_e32 v[18:19], v[10:11], v[12:13]
	global_load_dwordx4 v[12:15], v[20:21], off offset:1056
	ds_read_b128 v[8:11], v64 offset:25632
	ds_write_b128 v64, v[16:19] offset:23472
	s_waitcnt vmcnt(0) lgkmcnt(1)
	v_mul_f64 v[16:17], v[10:11], v[14:15]
	v_mul_f64 v[18:19], v[8:9], v[14:15]
	v_fma_f64 v[16:17], v[8:9], v[12:13], -v[16:17]
	v_fmac_f64_e32 v[18:19], v[10:11], v[12:13]
	global_load_dwordx4 v[12:15], v[20:21], off offset:3216
	ds_read_b128 v[8:11], v64 offset:27792
	ds_write_b128 v64, v[16:19] offset:25632
	s_waitcnt vmcnt(0) lgkmcnt(1)
	v_mul_f64 v[16:17], v[10:11], v[14:15]
	v_mul_f64 v[18:19], v[8:9], v[14:15]
	v_fma_f64 v[16:17], v[8:9], v[12:13], -v[16:17]
	v_fmac_f64_e32 v[18:19], v[10:11], v[12:13]
	ds_write_b128 v64, v[16:19] offset:27792
.LBB0_9:
	s_or_b64 exec, exec, s[8:9]
	s_waitcnt lgkmcnt(0)
	s_barrier
	ds_read_b128 v[48:51], v64
	ds_read_b128 v[56:59], v64 offset:2160
	ds_read_b128 v[44:47], v64 offset:4320
	;; [unrolled: 1-line block ×12, first 2 shown]
	s_and_saveexec_b64 s[0:1], vcc
	s_cbranch_execz .LBB0_11
; %bb.10:
	ds_read_b128 v[0:3], v64 offset:1872
	ds_read_b128 v[4:7], v64 offset:4032
	;; [unrolled: 1-line block ×13, first 2 shown]
.LBB0_11:
	s_or_b64 exec, exec, s[0:1]
	s_waitcnt lgkmcnt(11)
	v_add_f64 v[40:41], v[48:49], v[56:57]
	v_add_f64 v[42:43], v[50:51], v[58:59]
	s_waitcnt lgkmcnt(10)
	v_add_f64 v[40:41], v[40:41], v[44:45]
	v_add_f64 v[42:43], v[42:43], v[46:47]
	;; [unrolled: 3-line block ×9, first 2 shown]
	s_waitcnt lgkmcnt(2)
	v_add_f64 v[40:41], v[40:41], v[36:37]
	s_mov_b32 s10, 0x4267c47c
	s_mov_b32 s14, 0x42a4c3d2
	;; [unrolled: 1-line block ×6, first 2 shown]
	v_add_f64 v[42:43], v[42:43], v[38:39]
	s_waitcnt lgkmcnt(1)
	v_add_f64 v[40:41], v[40:41], v[52:53]
	s_waitcnt lgkmcnt(0)
	v_add_f64 v[74:75], v[58:59], v[62:63]
	v_add_f64 v[58:59], v[58:59], -v[62:63]
	s_mov_b32 s11, 0xbfddbe06
	s_mov_b32 s0, 0xe00740e9
	;; [unrolled: 1-line block ×12, first 2 shown]
	v_add_f64 v[42:43], v[42:43], v[54:55]
	v_add_f64 v[40:41], v[40:41], v[60:61]
	;; [unrolled: 1-line block ×3, first 2 shown]
	v_add_f64 v[56:57], v[56:57], -v[60:61]
	v_mul_f64 v[60:61], v[58:59], s[10:11]
	s_mov_b32 s1, 0x3fec55a7
	v_mul_f64 v[80:81], v[58:59], s[14:15]
	s_mov_b32 s9, 0x3fe22d96
	;; [unrolled: 2-line block ×6, first 2 shown]
	v_add_f64 v[42:43], v[42:43], v[62:63]
	v_fma_f64 v[62:63], s[0:1], v[72:73], v[60:61]
	v_fma_f64 v[60:61], v[72:73], s[0:1], -v[60:61]
	v_fma_f64 v[82:83], s[8:9], v[72:73], v[80:81]
	v_fma_f64 v[80:81], v[72:73], s[8:9], -v[80:81]
	;; [unrolled: 2-line block ×6, first 2 shown]
	v_add_f64 v[62:63], v[48:49], v[62:63]
	v_mul_f64 v[76:77], v[74:75], s[0:1]
	s_mov_b32 s25, 0x3fddbe06
	s_mov_b32 s24, s10
	v_add_f64 v[60:61], v[48:49], v[60:61]
	v_add_f64 v[82:83], v[48:49], v[82:83]
	v_mul_f64 v[84:85], v[74:75], s[8:9]
	s_mov_b32 s41, 0x3fea55e2
	s_mov_b32 s40, s14
	v_add_f64 v[80:81], v[48:49], v[80:81]
	v_add_f64 v[90:91], v[48:49], v[90:91]
	v_mul_f64 v[92:93], v[74:75], s[12:13]
	s_mov_b32 s35, 0x3fefc445
	s_mov_b32 s34, s18
	v_add_f64 v[88:89], v[48:49], v[88:89]
	v_add_f64 v[98:99], v[48:49], v[98:99]
	v_mul_f64 v[100:101], v[74:75], s[16:17]
	s_mov_b32 s39, 0x3fedeba7
	s_mov_b32 s38, s22
	v_add_f64 v[96:97], v[48:49], v[96:97]
	v_add_f64 v[104:105], v[48:49], v[104:105]
	v_mul_f64 v[106:107], v[74:75], s[20:21]
	s_mov_b32 s37, 0x3fe5384d
	s_mov_b32 s36, s28
	v_add_f64 v[68:69], v[48:49], v[68:69]
	v_add_f64 v[110:111], v[48:49], v[110:111]
	v_mul_f64 v[74:75], v[74:75], s[26:27]
	s_mov_b32 s42, s30
	v_add_f64 v[48:49], v[48:49], v[58:59]
	v_add_f64 v[58:59], v[46:47], v[54:55]
	v_add_f64 v[46:47], v[46:47], -v[54:55]
	v_fma_f64 v[78:79], s[24:25], v[56:57], v[76:77]
	v_fmac_f64_e32 v[76:77], s[10:11], v[56:57]
	v_fma_f64 v[86:87], s[40:41], v[56:57], v[84:85]
	v_fmac_f64_e32 v[84:85], s[14:15], v[56:57]
	;; [unrolled: 2-line block ×6, first 2 shown]
	v_add_f64 v[56:57], v[44:45], v[52:53]
	v_add_f64 v[44:45], v[44:45], -v[52:53]
	v_mul_f64 v[52:53], v[46:47], s[14:15]
	v_fma_f64 v[54:55], s[8:9], v[56:57], v[52:53]
	v_add_f64 v[54:55], v[54:55], v[62:63]
	v_mul_f64 v[62:63], v[58:59], s[8:9]
	v_add_f64 v[76:77], v[50:51], v[76:77]
	v_fma_f64 v[72:73], s[40:41], v[44:45], v[62:63]
	v_fma_f64 v[52:53], v[56:57], s[8:9], -v[52:53]
	v_fmac_f64_e32 v[62:63], s[14:15], v[44:45]
	v_add_f64 v[52:53], v[52:53], v[60:61]
	v_add_f64 v[60:61], v[62:63], v[76:77]
	v_mul_f64 v[62:63], v[46:47], s[22:23]
	v_add_f64 v[78:79], v[50:51], v[78:79]
	v_add_f64 v[86:87], v[50:51], v[86:87]
	;; [unrolled: 1-line block ×11, first 2 shown]
	v_fma_f64 v[74:75], s[16:17], v[56:57], v[62:63]
	v_mul_f64 v[76:77], v[58:59], s[16:17]
	v_fma_f64 v[62:63], v[56:57], s[16:17], -v[62:63]
	v_add_f64 v[72:73], v[72:73], v[78:79]
	v_fma_f64 v[78:79], s[38:39], v[44:45], v[76:77]
	v_add_f64 v[62:63], v[62:63], v[80:81]
	v_fmac_f64_e32 v[76:77], s[22:23], v[44:45]
	v_mul_f64 v[80:81], v[46:47], s[30:31]
	v_add_f64 v[74:75], v[74:75], v[82:83]
	v_add_f64 v[76:77], v[76:77], v[84:85]
	v_fma_f64 v[82:83], s[26:27], v[56:57], v[80:81]
	v_mul_f64 v[84:85], v[58:59], s[26:27]
	v_fma_f64 v[80:81], v[56:57], s[26:27], -v[80:81]
	v_add_f64 v[78:79], v[78:79], v[86:87]
	v_fma_f64 v[86:87], s[42:43], v[44:45], v[84:85]
	v_add_f64 v[80:81], v[80:81], v[88:89]
	v_fmac_f64_e32 v[84:85], s[30:31], v[44:45]
	v_mul_f64 v[88:89], v[46:47], s[36:37]
	v_add_f64 v[82:83], v[82:83], v[90:91]
	v_add_f64 v[84:85], v[84:85], v[92:93]
	;; [unrolled: 10-line block ×3, first 2 shown]
	v_fma_f64 v[98:99], s[12:13], v[56:57], v[96:97]
	v_mul_f64 v[100:101], v[58:59], s[12:13]
	v_mul_f64 v[58:59], v[58:59], s[0:1]
	v_add_f64 v[94:95], v[94:95], v[102:103]
	v_add_f64 v[98:99], v[98:99], v[104:105]
	v_fma_f64 v[102:103], s[18:19], v[44:45], v[100:101]
	v_fma_f64 v[96:97], v[56:57], s[12:13], -v[96:97]
	v_fmac_f64_e32 v[100:101], s[34:35], v[44:45]
	v_mul_f64 v[46:47], v[46:47], s[24:25]
	v_fma_f64 v[104:105], s[10:11], v[44:45], v[58:59]
	v_fmac_f64_e32 v[58:59], s[24:25], v[44:45]
	v_add_f64 v[68:69], v[96:97], v[68:69]
	v_add_f64 v[96:97], v[100:101], v[106:107]
	v_fma_f64 v[100:101], s[0:1], v[56:57], v[46:47]
	v_fma_f64 v[46:47], v[56:57], s[0:1], -v[46:47]
	v_add_f64 v[44:45], v[58:59], v[50:51]
	v_add_f64 v[50:51], v[34:35], v[38:39]
	v_add_f64 v[34:35], v[34:35], -v[38:39]
	v_add_f64 v[46:47], v[46:47], v[48:49]
	v_add_f64 v[48:49], v[32:33], v[36:37]
	v_add_f64 v[32:33], v[32:33], -v[36:37]
	v_mul_f64 v[36:37], v[34:35], s[18:19]
	v_fma_f64 v[38:39], s[12:13], v[48:49], v[36:37]
	v_add_f64 v[38:39], v[38:39], v[54:55]
	v_mul_f64 v[54:55], v[50:51], s[12:13]
	v_fma_f64 v[56:57], s[34:35], v[32:33], v[54:55]
	v_fma_f64 v[36:37], v[48:49], s[12:13], -v[36:37]
	v_fmac_f64_e32 v[54:55], s[18:19], v[32:33]
	v_add_f64 v[36:37], v[36:37], v[52:53]
	v_add_f64 v[52:53], v[54:55], v[60:61]
	v_mul_f64 v[54:55], v[34:35], s[30:31]
	v_mul_f64 v[60:61], v[50:51], s[26:27]
	v_add_f64 v[56:57], v[56:57], v[72:73]
	v_fma_f64 v[58:59], s[26:27], v[48:49], v[54:55]
	v_fma_f64 v[72:73], s[42:43], v[32:33], v[60:61]
	v_fma_f64 v[54:55], v[48:49], s[26:27], -v[54:55]
	v_fmac_f64_e32 v[60:61], s[30:31], v[32:33]
	v_add_f64 v[54:55], v[54:55], v[62:63]
	v_add_f64 v[60:61], v[60:61], v[76:77]
	v_mul_f64 v[62:63], v[34:35], s[38:39]
	v_mul_f64 v[76:77], v[50:51], s[16:17]
	v_add_f64 v[58:59], v[58:59], v[74:75]
	v_add_f64 v[72:73], v[72:73], v[78:79]
	v_fma_f64 v[74:75], s[16:17], v[48:49], v[62:63]
	v_fma_f64 v[78:79], s[22:23], v[32:33], v[76:77]
	v_fma_f64 v[62:63], v[48:49], s[16:17], -v[62:63]
	v_fmac_f64_e32 v[76:77], s[38:39], v[32:33]
	v_add_f64 v[62:63], v[62:63], v[80:81]
	v_add_f64 v[76:77], v[76:77], v[84:85]
	v_mul_f64 v[80:81], v[34:35], s[24:25]
	v_mul_f64 v[84:85], v[50:51], s[0:1]
	v_add_f64 v[74:75], v[74:75], v[82:83]
	;; [unrolled: 10-line block ×3, first 2 shown]
	v_add_f64 v[86:87], v[86:87], v[94:95]
	v_fma_f64 v[90:91], s[8:9], v[48:49], v[88:89]
	v_fma_f64 v[94:95], s[40:41], v[32:33], v[92:93]
	v_fma_f64 v[88:89], v[48:49], s[8:9], -v[88:89]
	v_fmac_f64_e32 v[92:93], s[14:15], v[32:33]
	v_mul_f64 v[34:35], v[34:35], s[28:29]
	v_add_f64 v[68:69], v[88:89], v[68:69]
	v_add_f64 v[88:89], v[92:93], v[96:97]
	v_fma_f64 v[92:93], s[20:21], v[48:49], v[34:35]
	v_mul_f64 v[50:51], v[50:51], s[20:21]
	v_fma_f64 v[34:35], v[48:49], s[20:21], -v[34:35]
	v_fma_f64 v[96:97], s[36:37], v[32:33], v[50:51]
	v_add_f64 v[34:35], v[34:35], v[46:47]
	v_fmac_f64_e32 v[50:51], s[28:29], v[32:33]
	v_add_f64 v[46:47], v[26:27], v[30:31]
	v_add_f64 v[26:27], v[26:27], -v[30:31]
	v_add_f64 v[32:33], v[50:51], v[44:45]
	v_add_f64 v[44:45], v[24:25], v[28:29]
	v_add_f64 v[24:25], v[24:25], -v[28:29]
	v_mul_f64 v[28:29], v[26:27], s[22:23]
	v_fma_f64 v[30:31], s[16:17], v[44:45], v[28:29]
	v_add_f64 v[30:31], v[30:31], v[38:39]
	v_mul_f64 v[38:39], v[46:47], s[16:17]
	v_fma_f64 v[48:49], s[38:39], v[24:25], v[38:39]
	v_fma_f64 v[28:29], v[44:45], s[16:17], -v[28:29]
	v_fmac_f64_e32 v[38:39], s[22:23], v[24:25]
	v_add_f64 v[28:29], v[28:29], v[36:37]
	v_add_f64 v[36:37], v[38:39], v[52:53]
	v_mul_f64 v[38:39], v[26:27], s[36:37]
	v_mul_f64 v[52:53], v[46:47], s[20:21]
	v_add_f64 v[48:49], v[48:49], v[56:57]
	v_fma_f64 v[50:51], s[20:21], v[44:45], v[38:39]
	v_fma_f64 v[56:57], s[28:29], v[24:25], v[52:53]
	v_fma_f64 v[38:39], v[44:45], s[20:21], -v[38:39]
	v_fmac_f64_e32 v[52:53], s[36:37], v[24:25]
	v_add_f64 v[38:39], v[38:39], v[54:55]
	v_add_f64 v[52:53], v[52:53], v[60:61]
	v_mul_f64 v[54:55], v[26:27], s[24:25]
	v_mul_f64 v[60:61], v[46:47], s[0:1]
	v_add_f64 v[50:51], v[50:51], v[58:59]
	v_add_f64 v[56:57], v[56:57], v[72:73]
	v_fma_f64 v[58:59], s[0:1], v[44:45], v[54:55]
	v_fma_f64 v[72:73], s[10:11], v[24:25], v[60:61]
	v_fma_f64 v[54:55], v[44:45], s[0:1], -v[54:55]
	v_fmac_f64_e32 v[60:61], s[24:25], v[24:25]
	v_add_f64 v[54:55], v[54:55], v[62:63]
	v_add_f64 v[60:61], v[60:61], v[76:77]
	v_mul_f64 v[62:63], v[26:27], s[18:19]
	v_mul_f64 v[76:77], v[46:47], s[12:13]
	v_add_f64 v[58:59], v[58:59], v[74:75]
	;; [unrolled: 10-line block ×3, first 2 shown]
	v_add_f64 v[78:79], v[78:79], v[86:87]
	v_fma_f64 v[82:83], s[26:27], v[44:45], v[80:81]
	v_fma_f64 v[86:87], s[30:31], v[24:25], v[84:85]
	v_fma_f64 v[80:81], v[44:45], s[26:27], -v[80:81]
	v_fmac_f64_e32 v[84:85], s[42:43], v[24:25]
	v_mul_f64 v[26:27], v[26:27], s[40:41]
	v_add_f64 v[68:69], v[80:81], v[68:69]
	v_add_f64 v[80:81], v[84:85], v[88:89]
	v_fma_f64 v[84:85], s[8:9], v[44:45], v[26:27]
	v_mul_f64 v[46:47], v[46:47], s[8:9]
	v_fma_f64 v[26:27], v[44:45], s[8:9], -v[26:27]
	v_fma_f64 v[88:89], s[14:15], v[24:25], v[46:47]
	v_add_f64 v[26:27], v[26:27], v[34:35]
	v_fmac_f64_e32 v[46:47], s[40:41], v[24:25]
	v_add_f64 v[34:35], v[18:19], v[22:23]
	v_add_f64 v[18:19], v[18:19], -v[22:23]
	v_add_f64 v[24:25], v[46:47], v[32:33]
	v_add_f64 v[32:33], v[16:17], v[20:21]
	v_add_f64 v[16:17], v[16:17], -v[20:21]
	v_mul_f64 v[20:21], v[18:19], s[28:29]
	v_fma_f64 v[22:23], s[20:21], v[32:33], v[20:21]
	v_add_f64 v[22:23], v[22:23], v[30:31]
	v_mul_f64 v[30:31], v[34:35], s[20:21]
	v_fma_f64 v[44:45], s[36:37], v[16:17], v[30:31]
	v_fma_f64 v[20:21], v[32:33], s[20:21], -v[20:21]
	v_fmac_f64_e32 v[30:31], s[28:29], v[16:17]
	v_add_f64 v[20:21], v[20:21], v[28:29]
	v_add_f64 v[28:29], v[30:31], v[36:37]
	v_mul_f64 v[30:31], v[18:19], s[34:35]
	v_mul_f64 v[46:47], v[34:35], s[12:13]
	v_add_f64 v[44:45], v[44:45], v[48:49]
	v_fma_f64 v[36:37], s[12:13], v[32:33], v[30:31]
	v_fma_f64 v[48:49], s[18:19], v[16:17], v[46:47]
	v_fma_f64 v[30:31], v[32:33], s[12:13], -v[30:31]
	v_fmac_f64_e32 v[46:47], s[34:35], v[16:17]
	v_add_f64 v[30:31], v[30:31], v[38:39]
	v_add_f64 v[38:39], v[46:47], v[52:53]
	v_mul_f64 v[46:47], v[18:19], s[14:15]
	v_mul_f64 v[52:53], v[34:35], s[8:9]
	v_add_f64 v[36:37], v[36:37], v[50:51]
	v_add_f64 v[48:49], v[48:49], v[56:57]
	v_fma_f64 v[50:51], s[8:9], v[32:33], v[46:47]
	v_fma_f64 v[56:57], s[40:41], v[16:17], v[52:53]
	v_fma_f64 v[46:47], v[32:33], s[8:9], -v[46:47]
	v_fmac_f64_e32 v[52:53], s[14:15], v[16:17]
	v_add_f64 v[46:47], v[46:47], v[54:55]
	v_add_f64 v[52:53], v[52:53], v[60:61]
	v_mul_f64 v[54:55], v[18:19], s[42:43]
	v_mul_f64 v[60:61], v[34:35], s[26:27]
	v_add_f64 v[102:103], v[102:103], v[108:109]
	v_add_f64 v[100:101], v[100:101], v[110:111]
	;; [unrolled: 1-line block ×4, first 2 shown]
	v_fma_f64 v[58:59], s[26:27], v[32:33], v[54:55]
	v_fma_f64 v[72:73], s[30:31], v[16:17], v[60:61]
	v_fma_f64 v[54:55], v[32:33], s[26:27], -v[54:55]
	v_fmac_f64_e32 v[60:61], s[42:43], v[16:17]
	v_add_f64 v[104:105], v[104:105], v[112:113]
	v_add_f64 v[94:95], v[94:95], v[102:103]
	;; [unrolled: 1-line block ×5, first 2 shown]
	v_mul_f64 v[62:63], v[18:19], s[24:25]
	v_mul_f64 v[76:77], v[34:35], s[0:1]
	v_add_f64 v[90:91], v[90:91], v[98:99]
	v_add_f64 v[96:97], v[96:97], v[104:105]
	;; [unrolled: 1-line block ×6, first 2 shown]
	v_fma_f64 v[74:75], s[0:1], v[32:33], v[62:63]
	v_fma_f64 v[78:79], s[10:11], v[16:17], v[76:77]
	v_fma_f64 v[62:63], v[32:33], s[0:1], -v[62:63]
	v_fmac_f64_e32 v[76:77], s[24:25], v[16:17]
	v_mul_f64 v[34:35], v[34:35], s[16:17]
	v_add_f64 v[92:93], v[10:11], -v[14:15]
	v_add_f64 v[82:83], v[82:83], v[90:91]
	v_add_f64 v[88:89], v[88:89], v[96:97]
	v_add_f64 v[78:79], v[78:79], v[86:87]
	v_add_f64 v[62:63], v[62:63], v[68:69]
	v_add_f64 v[68:69], v[76:77], v[80:81]
	v_fma_f64 v[80:81], s[38:39], v[16:17], v[34:35]
	v_add_f64 v[86:87], v[8:9], v[12:13]
	v_add_f64 v[90:91], v[8:9], -v[12:13]
	v_mul_f64 v[12:13], v[92:93], s[30:31]
	v_add_f64 v[80:81], v[80:81], v[88:89]
	v_add_f64 v[88:89], v[10:11], v[14:15]
	v_fma_f64 v[8:9], s[26:27], v[86:87], v[12:13]
	v_fma_f64 v[12:13], v[86:87], s[26:27], -v[12:13]
	v_mul_f64 v[14:15], v[88:89], s[26:27]
	v_add_f64 v[12:13], v[12:13], v[20:21]
	v_mul_f64 v[20:21], v[92:93], s[24:25]
	v_mul_f64 v[18:19], v[18:19], s[22:23]
	v_fmac_f64_e32 v[34:35], s[22:23], v[16:17]
	v_fma_f64 v[10:11], s[42:43], v[90:91], v[14:15]
	v_fmac_f64_e32 v[14:15], s[30:31], v[90:91]
	v_fma_f64 v[16:17], s[0:1], v[86:87], v[20:21]
	v_fma_f64 v[20:21], v[86:87], s[0:1], -v[20:21]
	v_fma_f64 v[76:77], s[16:17], v[32:33], v[18:19]
	v_fma_f64 v[18:19], v[32:33], s[16:17], -v[18:19]
	v_add_f64 v[8:9], v[8:9], v[22:23]
	v_add_f64 v[14:15], v[14:15], v[28:29]
	;; [unrolled: 1-line block ×3, first 2 shown]
	v_mul_f64 v[22:23], v[88:89], s[0:1]
	v_add_f64 v[20:21], v[20:21], v[30:31]
	v_mul_f64 v[28:29], v[92:93], s[28:29]
	v_mul_f64 v[30:31], v[88:89], s[20:21]
	;; [unrolled: 1-line block ×3, first 2 shown]
	v_add_f64 v[74:75], v[74:75], v[82:83]
	v_add_f64 v[76:77], v[76:77], v[84:85]
	;; [unrolled: 1-line block ×4, first 2 shown]
	v_fma_f64 v[18:19], s[10:11], v[90:91], v[22:23]
	v_fmac_f64_e32 v[22:23], s[24:25], v[90:91]
	v_fma_f64 v[24:25], s[20:21], v[86:87], v[28:29]
	v_fma_f64 v[26:27], s[36:37], v[90:91], v[30:31]
	v_fma_f64 v[32:33], s[8:9], v[86:87], v[36:37]
	v_add_f64 v[18:19], v[18:19], v[48:49]
	v_add_f64 v[22:23], v[22:23], v[38:39]
	;; [unrolled: 1-line block ×4, first 2 shown]
	v_fma_f64 v[28:29], v[86:87], s[20:21], -v[28:29]
	v_fmac_f64_e32 v[30:31], s[28:29], v[90:91]
	v_add_f64 v[32:33], v[32:33], v[58:59]
	v_mul_f64 v[38:39], v[88:89], s[8:9]
	v_fma_f64 v[36:37], v[86:87], s[8:9], -v[36:37]
	v_mul_f64 v[48:49], v[92:93], s[22:23]
	v_mul_f64 v[50:51], v[88:89], s[16:17]
	;; [unrolled: 1-line block ×4, first 2 shown]
	v_add_f64 v[10:11], v[10:11], v[44:45]
	v_add_f64 v[28:29], v[28:29], v[46:47]
	v_add_f64 v[30:31], v[30:31], v[52:53]
	v_fma_f64 v[34:35], s[14:15], v[90:91], v[38:39]
	v_add_f64 v[36:37], v[36:37], v[54:55]
	v_fmac_f64_e32 v[38:39], s[40:41], v[90:91]
	v_fma_f64 v[44:45], s[16:17], v[86:87], v[48:49]
	v_fma_f64 v[46:47], s[38:39], v[90:91], v[50:51]
	v_fma_f64 v[48:49], v[86:87], s[16:17], -v[48:49]
	v_fmac_f64_e32 v[50:51], s[22:23], v[90:91]
	v_fma_f64 v[52:53], s[12:13], v[86:87], v[56:57]
	v_fma_f64 v[54:55], s[18:19], v[90:91], v[58:59]
	v_fma_f64 v[56:57], v[86:87], s[12:13], -v[56:57]
	v_fmac_f64_e32 v[58:59], s[34:35], v[90:91]
	v_add_f64 v[34:35], v[34:35], v[72:73]
	v_add_f64 v[38:39], v[38:39], v[60:61]
	;; [unrolled: 1-line block ×10, first 2 shown]
	s_barrier
	ds_write_b128 v70, v[40:43]
	ds_write_b128 v70, v[8:11] offset:16
	ds_write_b128 v70, v[16:19] offset:32
	;; [unrolled: 1-line block ×12, first 2 shown]
	s_and_saveexec_b64 s[44:45], vcc
	s_cbranch_execz .LBB0_13
; %bb.12:
	v_accvgpr_write_b32 a106, v164
	v_accvgpr_write_b32 a110, v168
	;; [unrolled: 1-line block ×9, first 2 shown]
	v_accvgpr_read_b32 v169, a93
	v_accvgpr_write_b32 a142, v172
	v_accvgpr_write_b32 a143, v173
	v_accvgpr_read_b32 v173, a97
	v_accvgpr_write_b32 a103, v161
	v_accvgpr_write_b32 a104, v162
	;; [unrolled: 1-line block ×3, first 2 shown]
	v_accvgpr_read_b32 v165, a89
	v_accvgpr_read_b32 v168, a92
	;; [unrolled: 1-line block ×7, first 2 shown]
	v_accvgpr_write_b32 a94, v152
	v_accvgpr_write_b32 a98, v156
	v_accvgpr_read_b32 v164, a88
	v_accvgpr_read_b32 v163, a87
	;; [unrolled: 1-line block ×3, first 2 shown]
	v_accvgpr_write_b32 a86, v144
	v_accvgpr_write_b32 a90, v148
	v_accvgpr_write_b32 a95, v153
	v_accvgpr_write_b32 a96, v154
	v_accvgpr_write_b32 a97, v155
	v_accvgpr_write_b32 a99, v157
	v_accvgpr_write_b32 a100, v158
	v_accvgpr_write_b32 a101, v159
	v_accvgpr_read_b32 v157, a81
	v_accvgpr_write_b32 a87, v145
	v_accvgpr_write_b32 a88, v146
	;; [unrolled: 1-line block ×6, first 2 shown]
	v_accvgpr_read_b32 v149, a73
	v_accvgpr_read_b32 v156, a80
	;; [unrolled: 1-line block ×7, first 2 shown]
	v_accvgpr_write_b32 a70, v136
	v_accvgpr_write_b32 a78, v140
	v_accvgpr_read_b32 v153, a77
	v_accvgpr_write_b32 a71, v137
	v_accvgpr_write_b32 a72, v138
	;; [unrolled: 1-line block ×6, first 2 shown]
	v_accvgpr_read_b32 v141, a65
	v_accvgpr_read_b32 v152, a76
	;; [unrolled: 1-line block ×4, first 2 shown]
	v_accvgpr_write_b32 a74, v132
	v_accvgpr_read_b32 v140, a64
	v_accvgpr_read_b32 v139, a63
	;; [unrolled: 1-line block ×3, first 2 shown]
	v_accvgpr_write_b32 a62, v128
	v_accvgpr_write_b32 a75, v133
	;; [unrolled: 1-line block ×4, first 2 shown]
	v_accvgpr_read_b32 v137, a61
	v_accvgpr_write_b32 a63, v129
	v_accvgpr_write_b32 a64, v130
	;; [unrolled: 1-line block ×3, first 2 shown]
	v_accvgpr_read_b32 v133, a57
	v_accvgpr_read_b32 v145, a69
	v_accvgpr_read_b32 v135, a59
	v_accvgpr_read_b32 v134, a58
	v_accvgpr_read_b32 v131, a55
	v_accvgpr_read_b32 v130, a54
	v_accvgpr_read_b32 v143, a67
	v_accvgpr_read_b32 v142, a66
	v_accvgpr_read_b32 v136, a60
	v_add_f64 v[76:77], v[4:5], -v[134:135]
	v_accvgpr_read_b32 v161, a85
	v_accvgpr_read_b32 v132, a56
	;; [unrolled: 1-line block ×3, first 2 shown]
	v_add_f64 v[74:75], v[130:131], -v[142:143]
	v_mul_f64 v[28:29], v[76:77], s[30:31]
	v_add_f64 v[46:47], v[6:7], v[136:137]
	v_add_f64 v[88:89], v[6:7], -v[136:137]
	v_accvgpr_read_b32 v159, a83
	v_accvgpr_read_b32 v158, a82
	v_add_f64 v[72:73], v[138:139], -v[150:151]
	v_mul_f64 v[24:25], v[74:75], s[24:25]
	v_add_f64 v[44:45], v[132:133], v[144:145]
	v_fma_f64 v[30:31], s[26:27], v[46:47], v[28:29]
	v_add_f64 v[86:87], v[132:133], -v[144:145]
	v_add_f64 v[58:59], v[4:5], v[134:135]
	v_mul_f64 v[94:95], v[88:89], s[30:31]
	v_accvgpr_read_b32 v160, a84
	v_add_f64 v[70:71], v[146:147], -v[158:159]
	v_mul_f64 v[20:21], v[72:73], s[28:29]
	v_add_f64 v[42:43], v[140:141], v[152:153]
	v_fma_f64 v[26:27], s[0:1], v[44:45], v[24:25]
	v_add_f64 v[30:31], v[2:3], v[30:31]
	v_add_f64 v[84:85], v[140:141], -v[152:153]
	v_add_f64 v[56:57], v[130:131], v[142:143]
	v_mul_f64 v[90:91], v[86:87], s[24:25]
	v_fma_f64 v[96:97], v[58:59], s[26:27], -v[94:95]
	v_add_f64 v[62:63], v[154:155], -v[162:163]
	v_mul_f64 v[16:17], v[70:71], s[40:41]
	v_add_f64 v[40:41], v[148:149], v[160:161]
	v_fma_f64 v[22:23], s[20:21], v[42:43], v[20:21]
	v_add_f64 v[26:27], v[26:27], v[30:31]
	v_add_f64 v[82:83], v[148:149], -v[160:161]
	v_add_f64 v[54:55], v[138:139], v[150:151]
	v_mul_f64 v[34:35], v[84:85], s[28:29]
	v_fma_f64 v[92:93], v[56:57], s[0:1], -v[90:91]
	v_add_f64 v[96:97], v[0:1], v[96:97]
	v_add_f64 v[60:61], v[166:167], -v[170:171]
	v_mul_f64 v[14:15], v[62:63], s[22:23]
	v_add_f64 v[38:39], v[156:157], v[164:165]
	v_fma_f64 v[18:19], s[8:9], v[40:41], v[16:17]
	v_add_f64 v[22:23], v[22:23], v[26:27]
	v_add_f64 v[80:81], v[156:157], -v[164:165]
	v_add_f64 v[52:53], v[146:147], v[158:159]
	v_mul_f64 v[30:31], v[82:83], s[40:41]
	v_fma_f64 v[68:69], v[54:55], s[20:21], -v[34:35]
	v_add_f64 v[92:93], v[92:93], v[96:97]
	v_mul_f64 v[12:13], v[60:61], s[34:35]
	v_add_f64 v[36:37], v[168:169], v[172:173]
	v_fma_f64 v[10:11], s[16:17], v[38:39], v[14:15]
	v_add_f64 v[18:19], v[18:19], v[22:23]
	v_add_f64 v[78:79], v[168:169], -v[172:173]
	v_add_f64 v[50:51], v[154:155], v[162:163]
	v_mul_f64 v[22:23], v[80:81], s[22:23]
	v_fma_f64 v[32:33], v[52:53], s[8:9], -v[30:31]
	v_add_f64 v[68:69], v[68:69], v[92:93]
	v_fma_f64 v[8:9], s[12:13], v[36:37], v[12:13]
	v_add_f64 v[10:11], v[10:11], v[18:19]
	v_add_f64 v[48:49], v[166:167], v[170:171]
	v_mul_f64 v[18:19], v[78:79], s[34:35]
	v_fma_f64 v[26:27], v[50:51], s[16:17], -v[22:23]
	v_add_f64 v[32:33], v[32:33], v[68:69]
	v_add_f64 v[10:11], v[8:9], v[10:11]
	v_fma_f64 v[8:9], v[48:49], s[12:13], -v[18:19]
	v_add_f64 v[26:27], v[26:27], v[32:33]
	v_add_f64 v[8:9], v[8:9], v[26:27]
	v_fma_f64 v[26:27], v[46:47], s[26:27], -v[28:29]
	v_fma_f64 v[24:25], v[44:45], s[0:1], -v[24:25]
	v_add_f64 v[26:27], v[2:3], v[26:27]
	v_fma_f64 v[20:21], v[42:43], s[20:21], -v[20:21]
	v_add_f64 v[24:25], v[24:25], v[26:27]
	;; [unrolled: 2-line block ×5, first 2 shown]
	v_fmac_f64_e32 v[94:95], s[26:27], v[58:59]
	v_add_f64 v[14:15], v[12:13], v[14:15]
	v_fmac_f64_e32 v[90:91], s[0:1], v[56:57]
	v_add_f64 v[12:13], v[0:1], v[94:95]
	v_mul_f64 v[68:69], v[76:77], s[28:29]
	v_fmac_f64_e32 v[34:35], s[20:21], v[54:55]
	v_add_f64 v[12:13], v[90:91], v[12:13]
	v_mul_f64 v[32:33], v[74:75], s[34:35]
	v_fma_f64 v[90:91], s[20:21], v[46:47], v[68:69]
	v_mul_f64 v[102:103], v[88:89], s[28:29]
	v_fmac_f64_e32 v[30:31], s[8:9], v[52:53]
	v_add_f64 v[12:13], v[34:35], v[12:13]
	v_mul_f64 v[28:29], v[72:73], s[14:15]
	v_fma_f64 v[34:35], s[12:13], v[44:45], v[32:33]
	v_add_f64 v[90:91], v[2:3], v[90:91]
	v_mul_f64 v[98:99], v[86:87], s[34:35]
	v_fma_f64 v[104:105], v[58:59], s[20:21], -v[102:103]
	v_fmac_f64_e32 v[22:23], s[16:17], v[50:51]
	v_add_f64 v[12:13], v[30:31], v[12:13]
	v_mul_f64 v[24:25], v[70:71], s[42:43]
	v_fma_f64 v[30:31], s[8:9], v[42:43], v[28:29]
	v_add_f64 v[34:35], v[34:35], v[90:91]
	v_mul_f64 v[94:95], v[84:85], s[14:15]
	v_fma_f64 v[100:101], v[56:57], s[12:13], -v[98:99]
	v_add_f64 v[104:105], v[0:1], v[104:105]
	v_fmac_f64_e32 v[18:19], s[12:13], v[48:49]
	v_add_f64 v[12:13], v[22:23], v[12:13]
	v_mul_f64 v[22:23], v[62:63], s[24:25]
	v_fma_f64 v[26:27], s[26:27], v[40:41], v[24:25]
	v_add_f64 v[30:31], v[30:31], v[34:35]
	v_mul_f64 v[90:91], v[82:83], s[42:43]
	v_fma_f64 v[96:97], v[54:55], s[8:9], -v[94:95]
	v_add_f64 v[100:101], v[100:101], v[104:105]
	v_add_f64 v[12:13], v[18:19], v[12:13]
	v_mul_f64 v[20:21], v[60:61], s[22:23]
	v_fma_f64 v[18:19], s[0:1], v[38:39], v[22:23]
	v_add_f64 v[26:27], v[26:27], v[30:31]
	v_mul_f64 v[30:31], v[80:81], s[24:25]
	v_fma_f64 v[92:93], v[52:53], s[26:27], -v[90:91]
	v_add_f64 v[96:97], v[96:97], v[100:101]
	v_fma_f64 v[16:17], s[16:17], v[36:37], v[20:21]
	v_add_f64 v[18:19], v[18:19], v[26:27]
	v_mul_f64 v[26:27], v[78:79], s[22:23]
	v_fma_f64 v[34:35], v[50:51], s[0:1], -v[30:31]
	v_add_f64 v[92:93], v[92:93], v[96:97]
	v_add_f64 v[18:19], v[16:17], v[18:19]
	v_fma_f64 v[16:17], v[48:49], s[16:17], -v[26:27]
	v_add_f64 v[34:35], v[34:35], v[92:93]
	v_add_f64 v[16:17], v[16:17], v[34:35]
	v_fma_f64 v[34:35], v[46:47], s[20:21], -v[68:69]
	v_fma_f64 v[32:33], v[44:45], s[12:13], -v[32:33]
	v_add_f64 v[34:35], v[2:3], v[34:35]
	v_fma_f64 v[28:29], v[42:43], s[8:9], -v[28:29]
	v_add_f64 v[32:33], v[32:33], v[34:35]
	;; [unrolled: 2-line block ×5, first 2 shown]
	v_fmac_f64_e32 v[102:103], s[20:21], v[58:59]
	v_add_f64 v[22:23], v[20:21], v[22:23]
	v_fmac_f64_e32 v[98:99], s[12:13], v[56:57]
	v_add_f64 v[20:21], v[0:1], v[102:103]
	v_mul_f64 v[96:97], v[76:77], s[22:23]
	v_fmac_f64_e32 v[94:95], s[8:9], v[54:55]
	v_add_f64 v[20:21], v[98:99], v[20:21]
	v_mul_f64 v[92:93], v[74:75], s[36:37]
	v_fma_f64 v[98:99], s[16:17], v[46:47], v[96:97]
	v_mul_f64 v[110:111], v[88:89], s[22:23]
	v_fmac_f64_e32 v[90:91], s[26:27], v[52:53]
	v_add_f64 v[20:21], v[94:95], v[20:21]
	v_mul_f64 v[68:69], v[72:73], s[24:25]
	v_fma_f64 v[94:95], s[20:21], v[44:45], v[92:93]
	v_add_f64 v[98:99], v[2:3], v[98:99]
	v_mul_f64 v[106:107], v[86:87], s[36:37]
	v_fma_f64 v[112:113], v[58:59], s[16:17], -v[110:111]
	v_fmac_f64_e32 v[30:31], s[0:1], v[50:51]
	v_add_f64 v[20:21], v[90:91], v[20:21]
	v_mul_f64 v[32:33], v[70:71], s[18:19]
	v_fma_f64 v[90:91], s[0:1], v[42:43], v[68:69]
	v_add_f64 v[94:95], v[94:95], v[98:99]
	v_mul_f64 v[102:103], v[84:85], s[24:25]
	v_fma_f64 v[108:109], v[56:57], s[20:21], -v[106:107]
	v_add_f64 v[112:113], v[0:1], v[112:113]
	v_fmac_f64_e32 v[26:27], s[16:17], v[48:49]
	v_add_f64 v[20:21], v[30:31], v[20:21]
	v_mul_f64 v[30:31], v[62:63], s[42:43]
	v_fma_f64 v[34:35], s[12:13], v[40:41], v[32:33]
	v_add_f64 v[90:91], v[90:91], v[94:95]
	v_mul_f64 v[98:99], v[82:83], s[18:19]
	v_fma_f64 v[104:105], v[54:55], s[0:1], -v[102:103]
	v_add_f64 v[108:109], v[108:109], v[112:113]
	v_add_f64 v[20:21], v[26:27], v[20:21]
	v_mul_f64 v[28:29], v[60:61], s[40:41]
	v_fma_f64 v[26:27], s[26:27], v[38:39], v[30:31]
	v_add_f64 v[34:35], v[34:35], v[90:91]
	v_mul_f64 v[90:91], v[80:81], s[42:43]
	v_fma_f64 v[100:101], v[52:53], s[12:13], -v[98:99]
	v_add_f64 v[104:105], v[104:105], v[108:109]
	v_fma_f64 v[24:25], s[8:9], v[36:37], v[28:29]
	v_add_f64 v[26:27], v[26:27], v[34:35]
	v_mul_f64 v[34:35], v[78:79], s[40:41]
	v_fma_f64 v[94:95], v[50:51], s[26:27], -v[90:91]
	v_add_f64 v[100:101], v[100:101], v[104:105]
	v_add_f64 v[26:27], v[24:25], v[26:27]
	v_fma_f64 v[24:25], v[48:49], s[8:9], -v[34:35]
	v_add_f64 v[94:95], v[94:95], v[100:101]
	v_add_f64 v[24:25], v[24:25], v[94:95]
	v_fma_f64 v[94:95], v[46:47], s[16:17], -v[96:97]
	v_fma_f64 v[92:93], v[44:45], s[20:21], -v[92:93]
	v_add_f64 v[94:95], v[2:3], v[94:95]
	v_fma_f64 v[68:69], v[42:43], s[0:1], -v[68:69]
	v_add_f64 v[92:93], v[92:93], v[94:95]
	;; [unrolled: 2-line block ×5, first 2 shown]
	v_fmac_f64_e32 v[110:111], s[16:17], v[58:59]
	v_add_f64 v[30:31], v[28:29], v[30:31]
	v_fmac_f64_e32 v[106:107], s[20:21], v[56:57]
	v_add_f64 v[28:29], v[0:1], v[110:111]
	v_mul_f64 v[104:105], v[76:77], s[18:19]
	v_accvgpr_write_b32 a58, v118
	v_fmac_f64_e32 v[102:103], s[0:1], v[54:55]
	v_add_f64 v[28:29], v[106:107], v[28:29]
	v_mul_f64 v[100:101], v[74:75], s[30:31]
	v_fma_f64 v[106:107], s[12:13], v[46:47], v[104:105]
	v_accvgpr_write_b32 a54, v114
	v_accvgpr_write_b32 a59, v119
	;; [unrolled: 1-line block ×4, first 2 shown]
	v_mul_f64 v[118:119], v[88:89], s[18:19]
	v_fmac_f64_e32 v[98:99], s[12:13], v[52:53]
	v_add_f64 v[28:29], v[102:103], v[28:29]
	v_mul_f64 v[96:97], v[72:73], s[38:39]
	v_fma_f64 v[102:103], s[26:27], v[44:45], v[100:101]
	v_add_f64 v[106:107], v[2:3], v[106:107]
	v_accvgpr_write_b32 a55, v115
	v_accvgpr_write_b32 a56, v116
	;; [unrolled: 1-line block ×3, first 2 shown]
	v_mul_f64 v[114:115], v[86:87], s[30:31]
	v_fma_f64 v[120:121], v[58:59], s[12:13], -v[118:119]
	v_fmac_f64_e32 v[90:91], s[26:27], v[50:51]
	v_add_f64 v[28:29], v[98:99], v[28:29]
	v_mul_f64 v[92:93], v[70:71], s[24:25]
	v_fma_f64 v[98:99], s[16:17], v[42:43], v[96:97]
	v_add_f64 v[102:103], v[102:103], v[106:107]
	v_mul_f64 v[110:111], v[84:85], s[38:39]
	v_fma_f64 v[116:117], v[56:57], s[26:27], -v[114:115]
	v_add_f64 v[120:121], v[0:1], v[120:121]
	v_fmac_f64_e32 v[34:35], s[8:9], v[48:49]
	v_add_f64 v[28:29], v[90:91], v[28:29]
	v_mul_f64 v[90:91], v[62:63], s[14:15]
	v_fma_f64 v[94:95], s[0:1], v[40:41], v[92:93]
	v_add_f64 v[98:99], v[98:99], v[102:103]
	v_mul_f64 v[106:107], v[82:83], s[24:25]
	v_fma_f64 v[112:113], v[54:55], s[16:17], -v[110:111]
	v_add_f64 v[116:117], v[116:117], v[120:121]
	v_add_f64 v[28:29], v[34:35], v[28:29]
	v_mul_f64 v[68:69], v[60:61], s[28:29]
	v_fma_f64 v[34:35], s[8:9], v[38:39], v[90:91]
	v_add_f64 v[94:95], v[94:95], v[98:99]
	v_mul_f64 v[98:99], v[80:81], s[14:15]
	v_fma_f64 v[108:109], v[52:53], s[0:1], -v[106:107]
	v_add_f64 v[112:113], v[112:113], v[116:117]
	v_fma_f64 v[32:33], s[20:21], v[36:37], v[68:69]
	v_add_f64 v[34:35], v[34:35], v[94:95]
	v_mul_f64 v[94:95], v[78:79], s[28:29]
	v_fma_f64 v[102:103], v[50:51], s[8:9], -v[98:99]
	v_add_f64 v[108:109], v[108:109], v[112:113]
	v_add_f64 v[34:35], v[32:33], v[34:35]
	v_fma_f64 v[32:33], v[48:49], s[20:21], -v[94:95]
	v_add_f64 v[102:103], v[102:103], v[108:109]
	v_add_f64 v[32:33], v[32:33], v[102:103]
	v_fma_f64 v[102:103], v[46:47], s[12:13], -v[104:105]
	v_fma_f64 v[100:101], v[44:45], s[26:27], -v[100:101]
	v_add_f64 v[102:103], v[2:3], v[102:103]
	v_fma_f64 v[96:97], v[42:43], s[16:17], -v[96:97]
	v_add_f64 v[100:101], v[100:101], v[102:103]
	;; [unrolled: 2-line block ×5, first 2 shown]
	v_fmac_f64_e32 v[118:119], s[12:13], v[58:59]
	v_add_f64 v[92:93], v[68:69], v[90:91]
	v_fmac_f64_e32 v[114:115], s[26:27], v[56:57]
	v_add_f64 v[68:69], v[0:1], v[118:119]
	v_mul_f64 v[112:113], v[76:77], s[14:15]
	v_fmac_f64_e32 v[110:111], s[16:17], v[54:55]
	v_add_f64 v[68:69], v[114:115], v[68:69]
	v_mul_f64 v[108:109], v[74:75], s[22:23]
	v_fma_f64 v[114:115], s[8:9], v[46:47], v[112:113]
	v_accvgpr_write_b32 a69, v126
	v_accvgpr_write_b32 a82, v127
	v_mul_f64 v[126:127], v[88:89], s[14:15]
	v_fmac_f64_e32 v[106:107], s[0:1], v[52:53]
	v_add_f64 v[68:69], v[110:111], v[68:69]
	v_mul_f64 v[104:105], v[72:73], s[30:31]
	v_fma_f64 v[110:111], s[16:17], v[44:45], v[108:109]
	v_add_f64 v[114:115], v[2:3], v[114:115]
	v_accvgpr_write_b32 a1, v122
	v_accvgpr_write_b32 a66, v123
	v_mul_f64 v[122:123], v[86:87], s[22:23]
	v_fma_f64 v[128:129], v[58:59], s[8:9], -v[126:127]
	v_fmac_f64_e32 v[98:99], s[8:9], v[50:51]
	v_add_f64 v[68:69], v[106:107], v[68:69]
	v_mul_f64 v[100:101], v[70:71], s[36:37]
	v_fma_f64 v[106:107], s[26:27], v[42:43], v[104:105]
	v_add_f64 v[110:111], v[110:111], v[114:115]
	v_mul_f64 v[118:119], v[84:85], s[30:31]
	v_accvgpr_write_b32 a67, v124
	v_accvgpr_write_b32 a68, v125
	v_fma_f64 v[124:125], v[56:57], s[16:17], -v[122:123]
	v_add_f64 v[128:129], v[0:1], v[128:129]
	v_fmac_f64_e32 v[94:95], s[20:21], v[48:49]
	v_add_f64 v[68:69], v[98:99], v[68:69]
	v_mul_f64 v[98:99], v[62:63], s[34:35]
	v_fma_f64 v[102:103], s[20:21], v[40:41], v[100:101]
	v_add_f64 v[106:107], v[106:107], v[110:111]
	v_mul_f64 v[114:115], v[82:83], s[36:37]
	v_fma_f64 v[120:121], v[54:55], s[26:27], -v[118:119]
	v_add_f64 v[124:125], v[124:125], v[128:129]
	v_add_f64 v[90:91], v[94:95], v[68:69]
	v_mul_f64 v[68:69], v[60:61], s[24:25]
	v_fma_f64 v[96:97], s[12:13], v[38:39], v[98:99]
	v_add_f64 v[102:103], v[102:103], v[106:107]
	v_mul_f64 v[106:107], v[80:81], s[34:35]
	v_fma_f64 v[116:117], v[52:53], s[20:21], -v[114:115]
	v_add_f64 v[120:121], v[120:121], v[124:125]
	v_fma_f64 v[94:95], s[0:1], v[36:37], v[68:69]
	v_add_f64 v[96:97], v[96:97], v[102:103]
	v_mul_f64 v[102:103], v[78:79], s[24:25]
	v_fma_f64 v[110:111], v[50:51], s[12:13], -v[106:107]
	v_add_f64 v[116:117], v[116:117], v[120:121]
	v_add_f64 v[96:97], v[94:95], v[96:97]
	v_fma_f64 v[94:95], v[48:49], s[0:1], -v[102:103]
	v_add_f64 v[110:111], v[110:111], v[116:117]
	v_add_f64 v[94:95], v[94:95], v[110:111]
	v_fma_f64 v[110:111], v[46:47], s[8:9], -v[112:113]
	v_fma_f64 v[108:109], v[44:45], s[16:17], -v[108:109]
	v_add_f64 v[110:111], v[2:3], v[110:111]
	v_fma_f64 v[104:105], v[42:43], s[26:27], -v[104:105]
	v_add_f64 v[108:109], v[108:109], v[110:111]
	;; [unrolled: 2-line block ×5, first 2 shown]
	v_fmac_f64_e32 v[126:127], s[8:9], v[58:59]
	v_add_f64 v[100:101], v[68:69], v[98:99]
	v_fmac_f64_e32 v[122:123], s[16:17], v[56:57]
	v_add_f64 v[68:69], v[0:1], v[126:127]
	v_fmac_f64_e32 v[118:119], s[26:27], v[54:55]
	v_add_f64 v[68:69], v[122:123], v[68:69]
	v_mul_f64 v[76:77], v[76:77], s[10:11]
	v_fmac_f64_e32 v[114:115], s[20:21], v[52:53]
	v_add_f64 v[68:69], v[118:119], v[68:69]
	v_mul_f64 v[74:75], v[74:75], s[14:15]
	v_fma_f64 v[110:111], s[0:1], v[46:47], v[76:77]
	v_fma_f64 v[46:47], v[46:47], s[0:1], -v[76:77]
	v_fmac_f64_e32 v[106:107], s[12:13], v[50:51]
	v_add_f64 v[68:69], v[114:115], v[68:69]
	v_mul_f64 v[72:73], v[72:73], s[18:19]
	v_fma_f64 v[108:109], s[8:9], v[44:45], v[74:75]
	v_fma_f64 v[44:45], v[44:45], s[8:9], -v[74:75]
	v_add_f64 v[46:47], v[2:3], v[46:47]
	v_fmac_f64_e32 v[102:103], s[0:1], v[48:49]
	v_add_f64 v[68:69], v[106:107], v[68:69]
	v_mul_f64 v[70:71], v[70:71], s[22:23]
	v_fma_f64 v[106:107], s[12:13], v[42:43], v[72:73]
	v_fma_f64 v[42:43], v[42:43], s[12:13], -v[72:73]
	v_add_f64 v[44:45], v[44:45], v[46:47]
	v_add_f64 v[98:99], v[102:103], v[68:69]
	v_mul_f64 v[102:103], v[62:63], s[28:29]
	v_fma_f64 v[104:105], s[16:17], v[40:41], v[70:71]
	v_fma_f64 v[40:41], v[40:41], s[16:17], -v[70:71]
	v_add_f64 v[42:43], v[42:43], v[44:45]
	v_mul_f64 v[68:69], v[60:61], s[30:31]
	v_fma_f64 v[62:63], s[20:21], v[38:39], v[102:103]
	v_mul_f64 v[88:89], v[88:89], s[10:11]
	v_fma_f64 v[38:39], v[38:39], s[20:21], -v[102:103]
	v_add_f64 v[40:41], v[40:41], v[42:43]
	v_fma_f64 v[60:61], s[26:27], v[36:37], v[68:69]
	v_fma_f64 v[112:113], v[58:59], s[0:1], -v[88:89]
	v_fma_f64 v[36:37], v[36:37], s[26:27], -v[68:69]
	v_add_f64 v[38:39], v[38:39], v[40:41]
	v_fmac_f64_e32 v[88:89], s[0:1], v[58:59]
	v_add_f64 v[110:111], v[2:3], v[110:111]
	v_add_f64 v[112:113], v[0:1], v[112:113]
	;; [unrolled: 1-line block ×18, first 2 shown]
	v_mul_f64 v[86:87], v[86:87], s[14:15]
	v_add_f64 v[2:3], v[2:3], v[164:165]
	v_add_f64 v[0:1], v[0:1], v[162:163]
	v_add_f64 v[108:109], v[108:109], v[110:111]
	v_mul_f64 v[84:85], v[84:85], s[18:19]
	v_fma_f64 v[110:111], v[56:57], s[8:9], -v[86:87]
	v_fmac_f64_e32 v[86:87], s[8:9], v[56:57]
	v_add_f64 v[2:3], v[2:3], v[160:161]
	v_add_f64 v[0:1], v[0:1], v[158:159]
	;; [unrolled: 1-line block ×3, first 2 shown]
	v_mul_f64 v[82:83], v[82:83], s[22:23]
	v_fma_f64 v[108:109], v[54:55], s[12:13], -v[84:85]
	v_add_f64 v[110:111], v[110:111], v[112:113]
	v_fmac_f64_e32 v[84:85], s[12:13], v[54:55]
	v_add_f64 v[36:37], v[86:87], v[36:37]
	v_add_f64 v[2:3], v[2:3], v[152:153]
	;; [unrolled: 1-line block ×4, first 2 shown]
	v_mul_f64 v[80:81], v[80:81], s[28:29]
	v_fma_f64 v[106:107], v[52:53], s[16:17], -v[82:83]
	v_add_f64 v[108:109], v[108:109], v[110:111]
	v_fmac_f64_e32 v[82:83], s[16:17], v[52:53]
	v_add_f64 v[36:37], v[84:85], v[36:37]
	v_add_f64 v[2:3], v[2:3], v[144:145]
	;; [unrolled: 1-line block ×3, first 2 shown]
	v_accvgpr_read_b32 v121, a61
	v_accvgpr_read_b32 v117, a57
	v_add_f64 v[62:63], v[62:63], v[104:105]
	v_mul_f64 v[78:79], v[78:79], s[30:31]
	v_fma_f64 v[104:105], v[50:51], s[20:21], -v[80:81]
	v_add_f64 v[106:107], v[106:107], v[108:109]
	v_fmac_f64_e32 v[80:81], s[20:21], v[50:51]
	v_add_f64 v[36:37], v[82:83], v[36:37]
	v_add_f64 v[2:3], v[2:3], v[136:137]
	v_accvgpr_read_b32 v131, a65
	v_accvgpr_read_b32 v139, a73
	;; [unrolled: 1-line block ×10, first 2 shown]
	v_add_f64 v[0:1], v[0:1], v[134:135]
	v_accvgpr_read_b32 v135, a77
	v_accvgpr_read_b32 v125, a68
	v_accvgpr_read_b32 v124, a67
	v_accvgpr_read_b32 v127, a82
	v_accvgpr_read_b32 v126, a69
	v_accvgpr_read_b32 v123, a66
	v_accvgpr_read_b32 v122, a1
	v_accvgpr_read_b32 v120, a60
	v_accvgpr_read_b32 v119, a59
	v_accvgpr_read_b32 v118, a58
	v_accvgpr_read_b32 v116, a56
	v_accvgpr_read_b32 v115, a55
	v_accvgpr_read_b32 v114, a54
	v_add_f64 v[62:63], v[60:61], v[62:63]
	v_fma_f64 v[60:61], v[48:49], s[26:27], -v[78:79]
	v_add_f64 v[104:105], v[104:105], v[106:107]
	v_fmac_f64_e32 v[78:79], s[26:27], v[48:49]
	v_add_f64 v[36:37], v[80:81], v[36:37]
	v_accvgpr_read_b32 v173, a143
	v_accvgpr_read_b32 v172, a142
	;; [unrolled: 1-line block ×35, first 2 shown]
	v_lshlrev_b32_e32 v4, 4, v175
	v_add_f64 v[60:61], v[60:61], v[104:105]
	v_add_f64 v[36:37], v[78:79], v[36:37]
	ds_write_b128 v4, v[0:3]
	ds_write_b128 v4, v[36:39] offset:16
	ds_write_b128 v4, v[98:101] offset:32
	;; [unrolled: 1-line block ×12, first 2 shown]
.LBB0_13:
	s_or_b64 exec, exec, s[44:45]
	s_waitcnt lgkmcnt(0)
	s_barrier
	ds_read_b128 v[4:7], v64 offset:9360
	ds_read_b128 v[0:3], v64 offset:7488
	ds_read_b128 v[8:11], v64 offset:18720
	ds_read_b128 v[12:15], v64 offset:11232
	ds_read_b128 v[18:21], v64 offset:26208
	s_waitcnt lgkmcnt(4)
	v_mul_f64 v[28:29], v[120:121], v[6:7]
	v_fmac_f64_e32 v[28:29], v[118:119], v[4:5]
	v_mul_f64 v[4:5], v[120:121], v[4:5]
	v_fma_f64 v[30:31], v[118:119], v[6:7], -v[4:5]
	ds_read_b128 v[4:7], v64 offset:20592
	s_waitcnt lgkmcnt(3)
	v_mul_f64 v[32:33], v[116:117], v[10:11]
	v_fmac_f64_e32 v[32:33], v[114:115], v[8:9]
	v_mul_f64 v[8:9], v[116:117], v[8:9]
	v_fma_f64 v[38:39], v[114:115], v[10:11], -v[8:9]
	ds_read_b128 v[8:11], v64 offset:13104
	;; [unrolled: 6-line block ×3, first 2 shown]
	s_waitcnt lgkmcnt(1)
	v_mul_f64 v[50:51], v[146:147], v[10:11]
	v_fmac_f64_e32 v[50:51], v[144:145], v[8:9]
	v_mul_f64 v[8:9], v[146:147], v[8:9]
	v_mul_f64 v[42:43], v[138:139], v[14:15]
	v_fma_f64 v[52:53], v[144:145], v[10:11], -v[8:9]
	ds_read_b128 v[8:11], v64 offset:24336
	v_fmac_f64_e32 v[42:43], v[136:137], v[12:13]
	v_mul_f64 v[12:13], v[138:139], v[12:13]
	v_fma_f64 v[44:45], v[136:137], v[14:15], -v[12:13]
	s_waitcnt lgkmcnt(1)
	v_mul_f64 v[54:55], v[142:143], v[6:7]
	ds_read_b128 v[12:15], v64 offset:14976
	v_fmac_f64_e32 v[54:55], v[140:141], v[4:5]
	v_mul_f64 v[4:5], v[142:143], v[4:5]
	v_fma_f64 v[56:57], v[140:141], v[6:7], -v[4:5]
	ds_read_b128 v[4:7], v64 offset:16848
	s_waitcnt lgkmcnt(2)
	v_mul_f64 v[62:63], v[150:151], v[10:11]
	v_fmac_f64_e32 v[62:63], v[148:149], v[8:9]
	v_mul_f64 v[8:9], v[150:151], v[8:9]
	s_waitcnt lgkmcnt(1)
	v_mul_f64 v[58:59], v[154:155], v[14:15]
	v_fma_f64 v[68:69], v[148:149], v[10:11], -v[8:9]
	ds_read_b128 v[8:11], v64
	v_fmac_f64_e32 v[58:59], v[152:153], v[12:13]
	v_mul_f64 v[12:13], v[154:155], v[12:13]
	v_fma_f64 v[60:61], v[152:153], v[14:15], -v[12:13]
	s_waitcnt lgkmcnt(1)
	v_mul_f64 v[12:13], v[170:171], v[6:7]
	v_fmac_f64_e32 v[12:13], v[168:169], v[4:5]
	v_mul_f64 v[4:5], v[170:171], v[4:5]
	v_fma_f64 v[16:17], v[168:169], v[6:7], -v[4:5]
	v_mul_f64 v[14:15], v[162:163], v[20:21]
	v_mul_f64 v[4:5], v[162:163], v[18:19]
	v_fmac_f64_e32 v[14:15], v[160:161], v[18:19]
	v_fma_f64 v[18:19], v[160:161], v[20:21], -v[4:5]
	ds_read_b128 v[4:7], v64 offset:1872
	s_waitcnt lgkmcnt(1)
	v_add_f64 v[20:21], v[8:9], v[28:29]
	v_add_f64 v[22:23], v[10:11], v[30:31]
	;; [unrolled: 1-line block ×4, first 2 shown]
	ds_read_b128 v[24:27], v64 offset:3744
	ds_read_b128 v[34:37], v64 offset:5616
	s_waitcnt lgkmcnt(0)
	s_barrier
	ds_write_b128 v126, v[20:23]
	v_add_f64 v[20:21], v[28:29], v[32:33]
	v_fmac_f64_e32 v[8:9], -0.5, v[20:21]
	v_add_f64 v[20:21], v[30:31], v[38:39]
	s_mov_b32 s0, 0xe8584caa
	v_add_f64 v[40:41], v[30:31], -v[38:39]
	v_fmac_f64_e32 v[10:11], -0.5, v[20:21]
	v_add_f64 v[28:29], v[28:29], -v[32:33]
	s_mov_b32 s1, 0xbfebb67a
	s_mov_b32 s9, 0x3febb67a
	;; [unrolled: 1-line block ×3, first 2 shown]
	v_fma_f64 v[20:21], s[0:1], v[40:41], v[8:9]
	v_fma_f64 v[22:23], s[8:9], v[28:29], v[10:11]
	ds_write_b128 v126, v[20:23] offset:208
	v_add_f64 v[22:23], v[4:5], v[42:43]
	v_add_f64 v[20:21], v[42:43], v[46:47]
	;; [unrolled: 1-line block ×4, first 2 shown]
	v_fmac_f64_e32 v[8:9], s[8:9], v[40:41]
	v_fmac_f64_e32 v[10:11], s[0:1], v[28:29]
	v_fmac_f64_e32 v[4:5], -0.5, v[20:21]
	v_add_f64 v[28:29], v[44:45], -v[48:49]
	v_add_f64 v[40:41], v[22:23], v[48:49]
	v_add_f64 v[22:23], v[44:45], v[48:49]
	v_fma_f64 v[20:21], s[0:1], v[28:29], v[4:5]
	v_fmac_f64_e32 v[4:5], s[8:9], v[28:29]
	v_fmac_f64_e32 v[6:7], -0.5, v[22:23]
	v_add_f64 v[28:29], v[42:43], -v[46:47]
	v_fma_f64 v[22:23], s[8:9], v[28:29], v[6:7]
	v_fmac_f64_e32 v[6:7], s[0:1], v[28:29]
	v_add_f64 v[28:29], v[24:25], v[50:51]
	v_add_f64 v[46:47], v[28:29], v[54:55]
	v_add_f64 v[28:29], v[26:27], v[52:53]
	v_add_f64 v[48:49], v[28:29], v[56:57]
	v_add_f64 v[28:29], v[52:53], v[56:57]
	v_add_f64 v[30:31], v[50:51], v[54:55]
	v_fmac_f64_e32 v[26:27], -0.5, v[28:29]
	v_add_f64 v[28:29], v[50:51], -v[54:55]
	v_fmac_f64_e32 v[24:25], -0.5, v[30:31]
	v_add_f64 v[30:31], v[52:53], -v[56:57]
	v_fma_f64 v[44:45], s[8:9], v[28:29], v[26:27]
	v_fmac_f64_e32 v[26:27], s[0:1], v[28:29]
	v_add_f64 v[28:29], v[34:35], v[58:59]
	v_fma_f64 v[42:43], s[0:1], v[30:31], v[24:25]
	v_fmac_f64_e32 v[24:25], s[8:9], v[30:31]
	v_add_f64 v[30:31], v[58:59], v[62:63]
	v_add_f64 v[54:55], v[28:29], v[62:63]
	;; [unrolled: 1-line block ×3, first 2 shown]
	v_fmac_f64_e32 v[34:35], -0.5, v[30:31]
	v_add_f64 v[30:31], v[60:61], -v[68:69]
	v_add_f64 v[56:57], v[28:29], v[68:69]
	v_add_f64 v[28:29], v[60:61], v[68:69]
	v_fma_f64 v[50:51], s[0:1], v[30:31], v[34:35]
	v_fmac_f64_e32 v[34:35], s[8:9], v[30:31]
	v_fmac_f64_e32 v[36:37], -0.5, v[28:29]
	v_add_f64 v[28:29], v[58:59], -v[62:63]
	v_add_f64 v[30:31], v[12:13], v[14:15]
	v_fma_f64 v[52:53], s[8:9], v[28:29], v[36:37]
	v_fmac_f64_e32 v[36:37], s[0:1], v[28:29]
	v_add_f64 v[28:29], v[0:1], v[12:13]
	v_fmac_f64_e32 v[0:1], -0.5, v[30:31]
	ds_write_b128 v126, v[8:11] offset:416
	v_add_f64 v[10:11], v[16:17], -v[18:19]
	v_fma_f64 v[8:9], s[0:1], v[10:11], v[0:1]
	v_fmac_f64_e32 v[0:1], s[8:9], v[10:11]
	v_add_f64 v[10:11], v[2:3], v[16:17]
	v_add_f64 v[60:61], v[10:11], v[18:19]
	;; [unrolled: 1-line block ×3, first 2 shown]
	v_fmac_f64_e32 v[2:3], -0.5, v[10:11]
	v_add_f64 v[12:13], v[12:13], -v[14:15]
	v_accvgpr_read_b32 v68, a114
	v_fma_f64 v[10:11], s[8:9], v[12:13], v[2:3]
	v_fmac_f64_e32 v[2:3], s[0:1], v[12:13]
	v_accvgpr_read_b32 v70, a116
	v_accvgpr_read_b32 v71, a117
	v_add_f64 v[58:59], v[28:29], v[14:15]
	ds_write_b128 v122, v[38:41]
	ds_write_b128 v122, v[20:23] offset:208
	ds_write_b128 v122, v[4:7] offset:416
	ds_write_b128 v123, v[46:49]
	ds_write_b128 v123, v[42:45] offset:208
	ds_write_b128 v123, v[24:27] offset:416
	;; [unrolled: 3-line block ×4, first 2 shown]
	s_waitcnt lgkmcnt(0)
	s_barrier
	ds_read_b128 v[20:23], v64 offset:9360
	ds_read_b128 v[0:3], v64
	ds_read_b128 v[4:7], v64 offset:1872
	ds_read_b128 v[24:27], v64 offset:18720
	;; [unrolled: 1-line block ×10, first 2 shown]
	v_accvgpr_read_b32 v69, a115
	s_waitcnt lgkmcnt(6)
	v_mul_f64 v[62:63], v[70:71], v[40:41]
	v_fmac_f64_e32 v[62:63], v[68:69], v[38:39]
	v_mul_f64 v[38:39], v[70:71], v[38:39]
	v_mul_f64 v[70:71], v[166:167], v[36:37]
	v_accvgpr_read_b32 v76, a122
	v_mul_f64 v[54:55], v[158:159], v[22:23]
	v_fmac_f64_e32 v[70:71], v[164:165], v[34:35]
	v_mul_f64 v[34:35], v[166:167], v[34:35]
	v_accvgpr_read_b32 v78, a124
	v_accvgpr_read_b32 v79, a125
	v_fmac_f64_e32 v[54:55], v[156:157], v[20:21]
	v_mul_f64 v[20:21], v[158:159], v[20:21]
	v_fma_f64 v[72:73], v[164:165], v[36:37], -v[34:35]
	v_accvgpr_read_b32 v77, a123
	s_waitcnt lgkmcnt(5)
	v_mul_f64 v[74:75], v[78:79], v[44:45]
	v_mul_f64 v[34:35], v[78:79], v[42:43]
	v_fma_f64 v[56:57], v[156:157], v[22:23], -v[20:21]
	v_mul_f64 v[58:59], v[134:135], v[26:27]
	v_mul_f64 v[20:21], v[134:135], v[24:25]
	v_fmac_f64_e32 v[74:75], v[76:77], v[42:43]
	v_fma_f64 v[76:77], v[76:77], v[44:45], -v[34:35]
	v_accvgpr_read_b32 v42, a118
	v_fmac_f64_e32 v[58:59], v[132:133], v[24:25]
	v_fma_f64 v[60:61], v[132:133], v[26:27], -v[20:21]
	ds_read_b128 v[20:23], v64 offset:14976
	ds_read_b128 v[24:27], v64 offset:16848
	v_accvgpr_read_b32 v44, a120
	v_accvgpr_read_b32 v45, a121
	;; [unrolled: 1-line block ×3, first 2 shown]
	s_waitcnt lgkmcnt(4)
	v_mul_f64 v[34:35], v[44:45], v[46:47]
	v_mul_f64 v[78:79], v[44:45], v[48:49]
	v_fma_f64 v[48:49], v[42:43], v[48:49], -v[34:35]
	v_accvgpr_read_b32 v34, a130
	v_accvgpr_read_b32 v36, a132
	;; [unrolled: 1-line block ×4, first 2 shown]
	s_waitcnt lgkmcnt(1)
	v_mul_f64 v[80:81], v[36:37], v[22:23]
	v_fmac_f64_e32 v[80:81], v[34:35], v[20:21]
	v_mul_f64 v[20:21], v[36:37], v[20:21]
	v_fma_f64 v[82:83], v[34:35], v[22:23], -v[20:21]
	v_accvgpr_read_b32 v34, a126
	v_accvgpr_read_b32 v36, a128
	;; [unrolled: 1-line block ×4, first 2 shown]
	v_mul_f64 v[84:85], v[36:37], v[52:53]
	v_mul_f64 v[20:21], v[36:37], v[50:51]
	v_fma_f64 v[68:69], v[68:69], v[40:41], -v[38:39]
	ds_read_b128 v[38:41], v64 offset:26208
	v_fmac_f64_e32 v[84:85], v[34:35], v[50:51]
	v_fma_f64 v[86:87], v[34:35], v[52:53], -v[20:21]
	v_accvgpr_read_b32 v34, a138
	v_accvgpr_read_b32 v36, a140
	;; [unrolled: 1-line block ×4, first 2 shown]
	s_waitcnt lgkmcnt(1)
	v_mul_f64 v[88:89], v[36:37], v[26:27]
	v_fmac_f64_e32 v[88:89], v[34:35], v[24:25]
	v_mul_f64 v[20:21], v[36:37], v[24:25]
	v_accvgpr_read_b32 v22, a134
	v_accvgpr_read_b32 v24, a136
	;; [unrolled: 1-line block ×3, first 2 shown]
	v_fma_f64 v[90:91], v[34:35], v[26:27], -v[20:21]
	v_accvgpr_read_b32 v23, a135
	s_waitcnt lgkmcnt(0)
	v_mul_f64 v[92:93], v[24:25], v[40:41]
	v_mul_f64 v[20:21], v[24:25], v[38:39]
	v_fmac_f64_e32 v[92:93], v[22:23], v[38:39]
	v_fma_f64 v[94:95], v[22:23], v[40:41], -v[20:21]
	v_add_f64 v[22:23], v[54:55], v[58:59]
	v_add_f64 v[20:21], v[0:1], v[54:55]
	v_fmac_f64_e32 v[0:1], -0.5, v[22:23]
	v_add_f64 v[22:23], v[56:57], -v[60:61]
	v_add_f64 v[26:27], v[56:57], v[60:61]
	v_fma_f64 v[24:25], s[0:1], v[22:23], v[0:1]
	v_fmac_f64_e32 v[0:1], s[8:9], v[22:23]
	v_add_f64 v[22:23], v[2:3], v[56:57]
	v_fmac_f64_e32 v[2:3], -0.5, v[26:27]
	v_add_f64 v[34:35], v[54:55], -v[58:59]
	v_add_f64 v[36:37], v[62:63], v[70:71]
	v_fmac_f64_e32 v[78:79], v[42:43], v[46:47]
	v_fma_f64 v[26:27], s[8:9], v[34:35], v[2:3]
	v_fmac_f64_e32 v[2:3], s[0:1], v[34:35]
	v_add_f64 v[34:35], v[4:5], v[62:63]
	v_fmac_f64_e32 v[4:5], -0.5, v[36:37]
	v_add_f64 v[36:37], v[68:69], -v[72:73]
	v_add_f64 v[40:41], v[68:69], v[72:73]
	v_fma_f64 v[38:39], s[0:1], v[36:37], v[4:5]
	v_fmac_f64_e32 v[4:5], s[8:9], v[36:37]
	v_add_f64 v[36:37], v[6:7], v[68:69]
	v_fmac_f64_e32 v[6:7], -0.5, v[40:41]
	v_add_f64 v[42:43], v[62:63], -v[70:71]
	v_add_f64 v[44:45], v[74:75], v[78:79]
	v_fma_f64 v[40:41], s[8:9], v[42:43], v[6:7]
	v_fmac_f64_e32 v[6:7], s[0:1], v[42:43]
	v_add_f64 v[42:43], v[8:9], v[74:75]
	v_fmac_f64_e32 v[8:9], -0.5, v[44:45]
	v_add_f64 v[44:45], v[76:77], -v[48:49]
	v_fma_f64 v[46:47], s[0:1], v[44:45], v[8:9]
	v_fmac_f64_e32 v[8:9], s[8:9], v[44:45]
	v_add_f64 v[44:45], v[10:11], v[76:77]
	v_add_f64 v[44:45], v[44:45], v[48:49]
	v_add_f64 v[48:49], v[76:77], v[48:49]
	v_fmac_f64_e32 v[10:11], -0.5, v[48:49]
	v_add_f64 v[50:51], v[74:75], -v[78:79]
	v_add_f64 v[52:53], v[80:81], v[84:85]
	v_fma_f64 v[48:49], s[8:9], v[50:51], v[10:11]
	v_fmac_f64_e32 v[10:11], s[0:1], v[50:51]
	v_add_f64 v[50:51], v[12:13], v[80:81]
	v_fmac_f64_e32 v[12:13], -0.5, v[52:53]
	v_add_f64 v[52:53], v[82:83], -v[86:87]
	v_add_f64 v[56:57], v[82:83], v[86:87]
	v_add_f64 v[20:21], v[20:21], v[58:59]
	;; [unrolled: 1-line block ×3, first 2 shown]
	v_fma_f64 v[54:55], s[0:1], v[52:53], v[12:13]
	v_fmac_f64_e32 v[12:13], s[8:9], v[52:53]
	v_add_f64 v[52:53], v[14:15], v[82:83]
	v_fmac_f64_e32 v[14:15], -0.5, v[56:57]
	v_add_f64 v[58:59], v[80:81], -v[84:85]
	v_add_f64 v[60:61], v[88:89], v[92:93]
	v_fma_f64 v[56:57], s[8:9], v[58:59], v[14:15]
	v_fmac_f64_e32 v[14:15], s[0:1], v[58:59]
	v_add_f64 v[58:59], v[16:17], v[88:89]
	v_fmac_f64_e32 v[16:17], -0.5, v[60:61]
	v_add_f64 v[60:61], v[90:91], -v[94:95]
	v_add_f64 v[62:63], v[90:91], v[94:95]
	v_add_f64 v[34:35], v[34:35], v[70:71]
	;; [unrolled: 1-line block ×6, first 2 shown]
	v_fma_f64 v[70:71], s[0:1], v[60:61], v[16:17]
	v_fmac_f64_e32 v[16:17], s[8:9], v[60:61]
	v_add_f64 v[60:61], v[18:19], v[90:91]
	v_fmac_f64_e32 v[18:19], -0.5, v[62:63]
	v_add_f64 v[62:63], v[88:89], -v[92:93]
	s_barrier
	ds_write_b128 v127, v[20:23]
	ds_write_b128 v127, v[24:27] offset:624
	ds_write_b128 v127, v[0:3] offset:1248
	ds_write_b128 v172, v[34:37]
	ds_write_b128 v172, v[38:41] offset:624
	ds_write_b128 v172, v[4:7] offset:1248
	;; [unrolled: 3-line block ×3, first 2 shown]
	v_accvgpr_read_b32 v0, a144
	v_add_f64 v[58:59], v[58:59], v[92:93]
	v_add_f64 v[60:61], v[60:61], v[94:95]
	v_fma_f64 v[72:73], s[8:9], v[62:63], v[18:19]
	v_fmac_f64_e32 v[18:19], s[0:1], v[62:63]
	ds_write_b128 v0, v[50:53]
	ds_write_b128 v0, v[54:57] offset:624
	ds_write_b128 v0, v[12:15] offset:1248
	v_accvgpr_read_b32 v0, a145
	ds_write_b128 v0, v[58:61]
	ds_write_b128 v0, v[70:73] offset:624
	ds_write_b128 v0, v[16:19] offset:1248
	s_waitcnt lgkmcnt(0)
	s_barrier
	ds_read_b128 v[0:3], v64
	ds_read_b128 v[4:7], v64 offset:1872
	ds_read_b128 v[20:23], v64 offset:18720
	;; [unrolled: 1-line block ×14, first 2 shown]
	s_waitcnt lgkmcnt(4)
	v_mul_f64 v[62:63], v[182:183], v[52:53]
	v_fmac_f64_e32 v[62:63], v[180:181], v[50:51]
	v_mul_f64 v[50:51], v[182:183], v[50:51]
	v_fma_f64 v[50:51], v[180:181], v[52:53], -v[50:51]
	v_mul_f64 v[52:53], v[178:179], v[22:23]
	v_fmac_f64_e32 v[52:53], v[176:177], v[20:21]
	v_mul_f64 v[20:21], v[178:179], v[20:21]
	v_fma_f64 v[68:69], v[176:177], v[22:23], -v[20:21]
	v_mul_f64 v[20:21], v[182:183], v[34:35]
	v_fma_f64 v[76:77], v[180:181], v[36:37], -v[20:21]
	;; [unrolled: 2-line block ×5, first 2 shown]
	s_waitcnt lgkmcnt(2)
	v_mul_f64 v[20:21], v[198:199], v[54:55]
	v_mul_f64 v[90:91], v[198:199], v[56:57]
	v_fma_f64 v[56:57], v[196:197], v[56:57], -v[20:21]
	v_mul_f64 v[20:21], v[194:195], v[46:47]
	v_fma_f64 v[94:95], v[192:193], v[48:49], -v[20:21]
	s_waitcnt lgkmcnt(1)
	v_mul_f64 v[20:21], v[206:207], v[58:59]
	v_mul_f64 v[74:75], v[182:183], v[36:37]
	;; [unrolled: 1-line block ×3, first 2 shown]
	v_fma_f64 v[98:99], v[204:205], v[60:61], -v[20:21]
	s_waitcnt lgkmcnt(0)
	v_mul_f64 v[20:21], v[202:203], v[70:71]
	v_add_f64 v[22:23], v[62:63], v[52:53]
	v_fmac_f64_e32 v[74:75], v[180:181], v[34:35]
	v_fmac_f64_e32 v[78:79], v[176:177], v[24:25]
	v_mul_f64 v[100:101], v[202:203], v[72:73]
	v_fma_f64 v[72:73], v[200:201], v[72:73], -v[20:21]
	v_add_f64 v[20:21], v[0:1], v[62:63]
	v_fmac_f64_e32 v[0:1], -0.5, v[22:23]
	v_add_f64 v[22:23], v[50:51], -v[68:69]
	v_add_f64 v[26:27], v[50:51], v[68:69]
	v_mul_f64 v[82:83], v[190:191], v[40:41]
	v_mul_f64 v[86:87], v[186:187], v[44:45]
	v_fma_f64 v[24:25], s[0:1], v[22:23], v[0:1]
	v_fmac_f64_e32 v[0:1], s[8:9], v[22:23]
	v_add_f64 v[22:23], v[2:3], v[50:51]
	v_fmac_f64_e32 v[2:3], -0.5, v[26:27]
	v_add_f64 v[34:35], v[62:63], -v[52:53]
	v_add_f64 v[36:37], v[74:75], v[78:79]
	v_fmac_f64_e32 v[82:83], v[188:189], v[38:39]
	v_fmac_f64_e32 v[86:87], v[184:185], v[42:43]
	v_fma_f64 v[26:27], s[8:9], v[34:35], v[2:3]
	v_fmac_f64_e32 v[2:3], s[0:1], v[34:35]
	v_add_f64 v[34:35], v[4:5], v[74:75]
	v_fmac_f64_e32 v[4:5], -0.5, v[36:37]
	v_add_f64 v[36:37], v[76:77], -v[80:81]
	v_add_f64 v[40:41], v[76:77], v[80:81]
	v_mul_f64 v[92:93], v[194:195], v[48:49]
	v_fma_f64 v[38:39], s[0:1], v[36:37], v[4:5]
	v_fmac_f64_e32 v[4:5], s[8:9], v[36:37]
	v_add_f64 v[36:37], v[6:7], v[76:77]
	v_fmac_f64_e32 v[6:7], -0.5, v[40:41]
	v_add_f64 v[42:43], v[74:75], -v[78:79]
	v_add_f64 v[44:45], v[82:83], v[86:87]
	v_fmac_f64_e32 v[90:91], v[196:197], v[54:55]
	v_fmac_f64_e32 v[92:93], v[192:193], v[46:47]
	v_fma_f64 v[40:41], s[8:9], v[42:43], v[6:7]
	v_fmac_f64_e32 v[6:7], s[0:1], v[42:43]
	v_add_f64 v[42:43], v[8:9], v[82:83]
	v_fmac_f64_e32 v[8:9], -0.5, v[44:45]
	v_add_f64 v[44:45], v[84:85], -v[88:89]
	v_add_f64 v[48:49], v[84:85], v[88:89]
	v_add_f64 v[20:21], v[20:21], v[52:53]
	v_fma_f64 v[46:47], s[0:1], v[44:45], v[8:9]
	v_fmac_f64_e32 v[8:9], s[8:9], v[44:45]
	v_add_f64 v[44:45], v[10:11], v[84:85]
	v_fmac_f64_e32 v[10:11], -0.5, v[48:49]
	v_add_f64 v[50:51], v[82:83], -v[86:87]
	v_add_f64 v[52:53], v[90:91], v[92:93]
	v_mul_f64 v[96:97], v[206:207], v[60:61]
	v_fma_f64 v[48:49], s[8:9], v[50:51], v[10:11]
	v_fmac_f64_e32 v[10:11], s[0:1], v[50:51]
	v_add_f64 v[50:51], v[12:13], v[90:91]
	v_fmac_f64_e32 v[12:13], -0.5, v[52:53]
	v_add_f64 v[52:53], v[56:57], -v[94:95]
	v_fmac_f64_e32 v[96:97], v[204:205], v[58:59]
	v_fmac_f64_e32 v[100:101], v[200:201], v[70:71]
	v_fma_f64 v[54:55], s[0:1], v[52:53], v[12:13]
	v_fmac_f64_e32 v[12:13], s[8:9], v[52:53]
	v_add_f64 v[52:53], v[14:15], v[56:57]
	v_add_f64 v[56:57], v[56:57], v[94:95]
	v_fmac_f64_e32 v[14:15], -0.5, v[56:57]
	v_add_f64 v[58:59], v[90:91], -v[92:93]
	v_add_f64 v[60:61], v[96:97], v[100:101]
	v_add_f64 v[22:23], v[22:23], v[68:69]
	v_fma_f64 v[56:57], s[8:9], v[58:59], v[14:15]
	v_fmac_f64_e32 v[14:15], s[0:1], v[58:59]
	v_add_f64 v[58:59], v[16:17], v[96:97]
	v_fmac_f64_e32 v[16:17], -0.5, v[60:61]
	v_add_f64 v[60:61], v[98:99], -v[72:73]
	v_add_f64 v[62:63], v[98:99], v[72:73]
	v_add_f64 v[34:35], v[34:35], v[78:79]
	;; [unrolled: 1-line block ×5, first 2 shown]
	v_fma_f64 v[70:71], s[0:1], v[60:61], v[16:17]
	v_fmac_f64_e32 v[16:17], s[8:9], v[60:61]
	v_add_f64 v[60:61], v[18:19], v[98:99]
	v_fmac_f64_e32 v[18:19], -0.5, v[62:63]
	v_add_f64 v[62:63], v[96:97], -v[100:101]
	s_barrier
	ds_write_b128 v64, v[20:23]
	ds_write_b128 v64, v[24:27] offset:1872
	ds_write_b128 v64, v[0:3] offset:3744
	ds_write_b128 v64, v[34:37] offset:5616
	ds_write_b128 v64, v[38:41] offset:7488
	ds_write_b128 v64, v[4:7] offset:9360
	v_accvgpr_read_b32 v0, a146
	v_add_f64 v[50:51], v[50:51], v[92:93]
	v_add_f64 v[52:53], v[52:53], v[94:95]
	;; [unrolled: 1-line block ×4, first 2 shown]
	v_fma_f64 v[72:73], s[8:9], v[62:63], v[18:19]
	v_fmac_f64_e32 v[18:19], s[0:1], v[62:63]
	ds_write_b128 v0, v[42:45] offset:11232
	ds_write_b128 v0, v[46:49] offset:13104
	;; [unrolled: 1-line block ×3, first 2 shown]
	v_accvgpr_read_b32 v0, a147
	ds_write_b128 v0, v[50:53] offset:16848
	ds_write_b128 v0, v[54:57] offset:18720
	;; [unrolled: 1-line block ×6, first 2 shown]
	s_waitcnt lgkmcnt(0)
	s_barrier
	ds_read_b128 v[0:3], v64
	ds_read_b128 v[4:7], v64 offset:1872
	ds_read_b128 v[12:15], v64 offset:11232
	;; [unrolled: 1-line block ×14, first 2 shown]
	s_waitcnt lgkmcnt(12)
	v_mul_f64 v[76:77], v[222:223], v[14:15]
	v_fmac_f64_e32 v[76:77], v[220:221], v[12:13]
	v_mul_f64 v[12:13], v[222:223], v[12:13]
	v_fma_f64 v[78:79], v[220:221], v[14:15], -v[12:13]
	s_waitcnt lgkmcnt(4)
	v_mul_f64 v[12:13], v[218:219], v[48:49]
	v_mul_f64 v[80:81], v[218:219], v[50:51]
	v_fma_f64 v[50:51], v[216:217], v[50:51], -v[12:13]
	v_mul_f64 v[12:13], v[214:215], v[20:21]
	v_fma_f64 v[84:85], v[212:213], v[22:23], -v[12:13]
	;; [unrolled: 2-line block ×4, first 2 shown]
	s_waitcnt lgkmcnt(2)
	v_mul_f64 v[12:13], v[234:235], v[56:57]
	v_mul_f64 v[68:69], v[210:211], v[36:37]
	v_fma_f64 v[96:97], v[232:233], v[58:59], -v[12:13]
	v_mul_f64 v[12:13], v[230:231], v[24:25]
	v_fmac_f64_e32 v[68:69], v[208:209], v[34:35]
	v_mul_f64 v[34:35], v[210:211], v[34:35]
	v_fma_f64 v[100:101], v[228:229], v[26:27], -v[12:13]
	v_mul_f64 v[12:13], v[242:243], v[44:45]
	v_fma_f64 v[74:75], v[208:209], v[36:37], -v[34:35]
	v_fma_f64 v[34:35], v[240:241], v[46:47], -v[12:13]
	v_mul_f64 v[12:13], v[254:255], v[52:53]
	v_mul_f64 v[86:87], v[226:227], v[40:41]
	v_fma_f64 v[36:37], v[252:253], v[54:55], -v[12:13]
	s_waitcnt lgkmcnt(1)
	v_mul_f64 v[12:13], v[250:251], v[60:61]
	v_fmac_f64_e32 v[86:87], v[224:225], v[38:39]
	v_fma_f64 v[38:39], v[248:249], v[62:63], -v[12:13]
	s_waitcnt lgkmcnt(0)
	v_mul_f64 v[12:13], v[246:247], v[70:71]
	v_fma_f64 v[40:41], v[244:245], v[72:73], -v[12:13]
	v_add_f64 v[12:13], v[0:1], v[68:69]
	v_accvgpr_read_b32 v102, a0
	v_fmac_f64_e32 v[80:81], v[216:217], v[48:49]
	v_mul_f64 v[82:83], v[214:215], v[22:23]
	v_add_f64 v[12:13], v[12:13], v[76:77]
	v_mov_b32_e32 v28, s2
	v_mov_b32_e32 v29, s3
	v_mad_u64_u32 v[30:31], s[2:3], s6, v102, 0
	v_fmac_f64_e32 v[82:83], v[212:213], v[20:21]
	v_mul_f64 v[90:91], v[238:239], v[18:19]
	v_add_f64 v[12:13], v[12:13], v[80:81]
	v_fmac_f64_e32 v[90:91], v[236:237], v[16:17]
	v_add_f64 v[16:17], v[12:13], v[82:83]
	v_add_f64 v[12:13], v[76:77], v[80:81]
	s_mov_b32 s2, 0x134454ff
	v_mul_f64 v[98:99], v[230:231], v[26:27]
	v_fma_f64 v[12:13], -0.5, v[12:13], v[0:1]
	v_add_f64 v[14:15], v[74:75], -v[84:85]
	s_mov_b32 s3, 0xbfee6f0e
	s_mov_b32 s0, 0x4755a5e
	s_mov_b32 s11, 0x3fee6f0e
	s_mov_b32 s10, s2
	v_fmac_f64_e32 v[98:99], v[228:229], v[24:25]
	v_fma_f64 v[20:21], s[2:3], v[14:15], v[12:13]
	v_add_f64 v[18:19], v[78:79], -v[50:51]
	s_mov_b32 s1, 0xbfe2cf23
	v_add_f64 v[22:23], v[68:69], -v[76:77]
	v_add_f64 v[24:25], v[82:83], -v[80:81]
	s_mov_b32 s8, 0x372fe950
	v_fmac_f64_e32 v[12:13], s[10:11], v[14:15]
	s_mov_b32 s13, 0x3fe2cf23
	s_mov_b32 s12, s0
	v_fmac_f64_e32 v[20:21], s[0:1], v[18:19]
	v_add_f64 v[22:23], v[22:23], v[24:25]
	s_mov_b32 s9, 0x3fd3c6ef
	v_fmac_f64_e32 v[12:13], s[12:13], v[18:19]
	v_fmac_f64_e32 v[20:21], s[8:9], v[22:23]
	;; [unrolled: 1-line block ×3, first 2 shown]
	v_add_f64 v[22:23], v[68:69], v[82:83]
	v_fmac_f64_e32 v[0:1], -0.5, v[22:23]
	v_fma_f64 v[24:25], s[10:11], v[18:19], v[0:1]
	v_fmac_f64_e32 v[0:1], s[2:3], v[18:19]
	v_fmac_f64_e32 v[24:25], s[0:1], v[14:15]
	v_fmac_f64_e32 v[0:1], s[12:13], v[14:15]
	v_add_f64 v[14:15], v[2:3], v[74:75]
	v_add_f64 v[14:15], v[14:15], v[78:79]
	v_mul_f64 v[42:43], v[242:243], v[46:47]
	v_add_f64 v[14:15], v[14:15], v[50:51]
	v_fmac_f64_e32 v[42:43], v[240:241], v[44:45]
	v_mul_f64 v[44:45], v[254:255], v[54:55]
	v_add_f64 v[22:23], v[76:77], -v[68:69]
	v_add_f64 v[26:27], v[80:81], -v[82:83]
	v_add_f64 v[18:19], v[14:15], v[84:85]
	v_add_f64 v[14:15], v[78:79], v[50:51]
	v_mul_f64 v[94:95], v[234:235], v[58:59]
	v_fmac_f64_e32 v[44:45], v[252:253], v[52:53]
	v_add_f64 v[22:23], v[22:23], v[26:27]
	v_fma_f64 v[14:15], -0.5, v[14:15], v[2:3]
	v_add_f64 v[52:53], v[68:69], -v[82:83]
	v_fmac_f64_e32 v[94:95], v[232:233], v[56:57]
	v_fmac_f64_e32 v[24:25], s[8:9], v[22:23]
	v_fmac_f64_e32 v[0:1], s[8:9], v[22:23]
	v_fma_f64 v[22:23], s[10:11], v[52:53], v[14:15]
	v_add_f64 v[54:55], v[76:77], -v[80:81]
	v_add_f64 v[26:27], v[74:75], -v[78:79]
	;; [unrolled: 1-line block ×3, first 2 shown]
	v_fmac_f64_e32 v[14:15], s[2:3], v[52:53]
	v_fmac_f64_e32 v[22:23], s[12:13], v[54:55]
	v_add_f64 v[26:27], v[26:27], v[56:57]
	v_fmac_f64_e32 v[14:15], s[0:1], v[54:55]
	v_fmac_f64_e32 v[22:23], s[8:9], v[26:27]
	;; [unrolled: 1-line block ×3, first 2 shown]
	v_add_f64 v[26:27], v[74:75], v[84:85]
	v_fmac_f64_e32 v[2:3], -0.5, v[26:27]
	v_fma_f64 v[26:27], s[2:3], v[54:55], v[2:3]
	v_fmac_f64_e32 v[2:3], s[10:11], v[54:55]
	v_fmac_f64_e32 v[26:27], s[12:13], v[52:53]
	;; [unrolled: 1-line block ×3, first 2 shown]
	v_add_f64 v[52:53], v[90:91], v[94:95]
	v_mul_f64 v[46:47], v[250:251], v[62:63]
	v_add_f64 v[56:57], v[78:79], -v[74:75]
	v_add_f64 v[50:51], v[50:51], -v[84:85]
	v_fma_f64 v[54:55], -0.5, v[52:53], v[4:5]
	v_add_f64 v[52:53], v[88:89], -v[100:101]
	v_fmac_f64_e32 v[46:47], v[248:249], v[60:61]
	v_add_f64 v[50:51], v[56:57], v[50:51]
	v_fma_f64 v[58:59], s[2:3], v[52:53], v[54:55]
	v_add_f64 v[56:57], v[92:93], -v[96:97]
	v_add_f64 v[60:61], v[86:87], -v[90:91]
	;; [unrolled: 1-line block ×3, first 2 shown]
	v_fmac_f64_e32 v[54:55], s[10:11], v[52:53]
	v_fmac_f64_e32 v[58:59], s[0:1], v[56:57]
	v_add_f64 v[60:61], v[60:61], v[62:63]
	v_fmac_f64_e32 v[54:55], s[12:13], v[56:57]
	v_fmac_f64_e32 v[58:59], s[8:9], v[60:61]
	;; [unrolled: 1-line block ×3, first 2 shown]
	v_add_f64 v[60:61], v[86:87], v[98:99]
	v_mul_f64 v[48:49], v[246:247], v[72:73]
	v_fmac_f64_e32 v[26:27], s[8:9], v[50:51]
	v_fmac_f64_e32 v[2:3], s[8:9], v[50:51]
	v_add_f64 v[50:51], v[4:5], v[86:87]
	v_fmac_f64_e32 v[4:5], -0.5, v[60:61]
	v_fmac_f64_e32 v[48:49], v[244:245], v[70:71]
	v_fma_f64 v[70:71], s[10:11], v[56:57], v[4:5]
	v_add_f64 v[60:61], v[90:91], -v[86:87]
	v_add_f64 v[62:63], v[94:95], -v[98:99]
	v_fmac_f64_e32 v[4:5], s[2:3], v[56:57]
	v_add_f64 v[56:57], v[92:93], v[96:97]
	v_fmac_f64_e32 v[70:71], s[0:1], v[52:53]
	v_add_f64 v[60:61], v[60:61], v[62:63]
	v_fmac_f64_e32 v[4:5], s[12:13], v[52:53]
	v_fma_f64 v[56:57], -0.5, v[56:57], v[6:7]
	v_add_f64 v[62:63], v[86:87], -v[98:99]
	v_fmac_f64_e32 v[70:71], s[8:9], v[60:61]
	v_fmac_f64_e32 v[4:5], s[8:9], v[60:61]
	v_fma_f64 v[60:61], s[10:11], v[62:63], v[56:57]
	v_add_f64 v[68:69], v[90:91], -v[94:95]
	v_add_f64 v[72:73], v[88:89], -v[92:93]
	;; [unrolled: 1-line block ×3, first 2 shown]
	v_fmac_f64_e32 v[56:57], s[2:3], v[62:63]
	v_fmac_f64_e32 v[60:61], s[12:13], v[68:69]
	v_add_f64 v[72:73], v[72:73], v[74:75]
	v_fmac_f64_e32 v[56:57], s[0:1], v[68:69]
	v_fmac_f64_e32 v[60:61], s[8:9], v[72:73]
	;; [unrolled: 1-line block ×3, first 2 shown]
	v_add_f64 v[72:73], v[88:89], v[100:101]
	v_add_f64 v[52:53], v[6:7], v[88:89]
	v_fmac_f64_e32 v[6:7], -0.5, v[72:73]
	v_fma_f64 v[72:73], s[2:3], v[68:69], v[6:7]
	v_fmac_f64_e32 v[6:7], s[10:11], v[68:69]
	v_fmac_f64_e32 v[72:73], s[12:13], v[62:63]
	;; [unrolled: 1-line block ×3, first 2 shown]
	v_add_f64 v[62:63], v[8:9], v[42:43]
	v_add_f64 v[74:75], v[92:93], -v[88:89]
	v_add_f64 v[76:77], v[96:97], -v[100:101]
	v_add_f64 v[62:63], v[62:63], v[44:45]
	v_add_f64 v[74:75], v[74:75], v[76:77]
	;; [unrolled: 1-line block ×3, first 2 shown]
	v_fmac_f64_e32 v[72:73], s[8:9], v[74:75]
	v_fmac_f64_e32 v[6:7], s[8:9], v[74:75]
	v_add_f64 v[74:75], v[62:63], v[48:49]
	v_add_f64 v[62:63], v[44:45], v[46:47]
	v_fma_f64 v[78:79], -0.5, v[62:63], v[8:9]
	v_add_f64 v[62:63], v[34:35], -v[40:41]
	v_fma_f64 v[82:83], s[2:3], v[62:63], v[78:79]
	v_add_f64 v[68:69], v[36:37], -v[38:39]
	v_add_f64 v[76:77], v[42:43], -v[44:45]
	;; [unrolled: 1-line block ×3, first 2 shown]
	v_fmac_f64_e32 v[78:79], s[10:11], v[62:63]
	v_fmac_f64_e32 v[82:83], s[0:1], v[68:69]
	v_add_f64 v[76:77], v[76:77], v[80:81]
	v_fmac_f64_e32 v[78:79], s[12:13], v[68:69]
	v_fmac_f64_e32 v[82:83], s[8:9], v[76:77]
	v_fmac_f64_e32 v[78:79], s[8:9], v[76:77]
	v_add_f64 v[76:77], v[42:43], v[48:49]
	v_fmac_f64_e32 v[8:9], -0.5, v[76:77]
	v_fma_f64 v[86:87], s[10:11], v[68:69], v[8:9]
	v_fmac_f64_e32 v[8:9], s[2:3], v[68:69]
	v_fmac_f64_e32 v[86:87], s[0:1], v[62:63]
	;; [unrolled: 1-line block ×3, first 2 shown]
	v_add_f64 v[62:63], v[10:11], v[34:35]
	v_add_f64 v[76:77], v[44:45], -v[42:43]
	v_add_f64 v[80:81], v[46:47], -v[48:49]
	v_add_f64 v[62:63], v[62:63], v[36:37]
	v_add_f64 v[76:77], v[76:77], v[80:81]
	;; [unrolled: 1-line block ×3, first 2 shown]
	v_fmac_f64_e32 v[86:87], s[8:9], v[76:77]
	v_fmac_f64_e32 v[8:9], s[8:9], v[76:77]
	v_add_f64 v[76:77], v[62:63], v[40:41]
	v_add_f64 v[62:63], v[36:37], v[38:39]
	v_fma_f64 v[80:81], -0.5, v[62:63], v[10:11]
	v_add_f64 v[42:43], v[42:43], -v[48:49]
	v_fma_f64 v[84:85], s[10:11], v[42:43], v[80:81]
	v_add_f64 v[44:45], v[44:45], -v[46:47]
	v_add_f64 v[46:47], v[34:35], -v[36:37]
	;; [unrolled: 1-line block ×3, first 2 shown]
	v_fmac_f64_e32 v[80:81], s[2:3], v[42:43]
	v_fmac_f64_e32 v[84:85], s[12:13], v[44:45]
	v_add_f64 v[46:47], v[46:47], v[48:49]
	v_fmac_f64_e32 v[80:81], s[0:1], v[44:45]
	v_fmac_f64_e32 v[84:85], s[8:9], v[46:47]
	v_fmac_f64_e32 v[80:81], s[8:9], v[46:47]
	v_add_f64 v[46:47], v[34:35], v[40:41]
	v_fmac_f64_e32 v[10:11], -0.5, v[46:47]
	v_add_f64 v[50:51], v[50:51], v[90:91]
	v_add_f64 v[52:53], v[52:53], v[92:93]
	v_fma_f64 v[88:89], s[2:3], v[44:45], v[10:11]
	v_add_f64 v[34:35], v[36:37], -v[34:35]
	v_add_f64 v[36:37], v[38:39], -v[40:41]
	v_fmac_f64_e32 v[10:11], s[10:11], v[44:45]
	v_add_f64 v[50:51], v[50:51], v[94:95]
	v_add_f64 v[52:53], v[52:53], v[96:97]
	v_fmac_f64_e32 v[88:89], s[12:13], v[42:43]
	v_add_f64 v[34:35], v[34:35], v[36:37]
	v_fmac_f64_e32 v[10:11], s[0:1], v[42:43]
	v_add_f64 v[50:51], v[50:51], v[98:99]
	v_add_f64 v[52:53], v[52:53], v[100:101]
	v_fmac_f64_e32 v[88:89], s[8:9], v[34:35]
	v_fmac_f64_e32 v[10:11], s[8:9], v[34:35]
	ds_write_b128 v64, v[16:19]
	ds_write_b128 v64, v[20:23] offset:5616
	ds_write_b128 v64, v[24:27] offset:11232
	;; [unrolled: 1-line block ×14, first 2 shown]
	s_waitcnt lgkmcnt(0)
	s_barrier
	ds_read_b128 v[0:3], v64
	v_mov_b32_e32 v32, v31
	v_accvgpr_read_b32 v13, a5
	v_mad_u64_u32 v[4:5], s[0:1], s7, v102, v[32:33]
	v_accvgpr_read_b32 v12, a4
	v_mov_b32_e32 v31, v4
	ds_read_b128 v[4:7], v64 offset:2160
	v_accvgpr_read_b32 v11, a3
	v_accvgpr_read_b32 v10, a2
	s_waitcnt lgkmcnt(1)
	v_mul_f64 v[8:9], v[12:13], v[2:3]
	v_fmac_f64_e32 v[8:9], v[10:11], v[0:1]
	s_mov_b32 s0, 0x68012abd
	v_mul_f64 v[0:1], v[12:13], v[0:1]
	s_mov_b32 s1, 0x3f42abd5
	v_fma_f64 v[0:1], v[10:11], v[2:3], -v[0:1]
	v_mov_b32_e32 v130, v174
	v_mul_f64 v[10:11], v[0:1], s[0:1]
	v_mad_u64_u32 v[0:1], s[2:3], s4, v130, 0
	v_mov_b32_e32 v2, v1
	v_mad_u64_u32 v[2:3], s[2:3], s5, v130, v[2:3]
	v_mov_b32_e32 v1, v2
	v_lshl_add_u64 v[2:3], v[30:31], 4, v[28:29]
	v_mul_f64 v[8:9], v[8:9], s[0:1]
	v_lshl_add_u64 v[12:13], v[0:1], 4, v[2:3]
	global_store_dwordx4 v[12:13], v[8:11], off
	s_mul_i32 s2, s5, 0x87
	s_mul_hi_u32 s3, s4, 0x87
	v_accvgpr_read_b32 v11, a9
	v_accvgpr_read_b32 v10, a8
	;; [unrolled: 1-line block ×4, first 2 shown]
	s_waitcnt lgkmcnt(0)
	v_mul_f64 v[0:1], v[10:11], v[6:7]
	v_mul_f64 v[2:3], v[10:11], v[4:5]
	v_fmac_f64_e32 v[0:1], v[8:9], v[4:5]
	v_fma_f64 v[2:3], v[8:9], v[6:7], -v[2:3]
	ds_read_b128 v[4:7], v64 offset:4320
	s_add_i32 s3, s3, s2
	s_mul_i32 s2, s4, 0x87
	s_lshl_b64 s[2:3], s[2:3], 4
	v_accvgpr_read_b32 v14, a22
	v_mul_f64 v[0:1], v[0:1], s[0:1]
	v_mul_f64 v[2:3], v[2:3], s[0:1]
	v_lshl_add_u64 v[12:13], v[12:13], 0, s[2:3]
	v_accvgpr_read_b32 v16, a24
	v_accvgpr_read_b32 v17, a25
	global_store_dwordx4 v[12:13], v[0:3], off
	ds_read_b128 v[0:3], v64 offset:6480
	v_accvgpr_read_b32 v15, a23
	s_waitcnt lgkmcnt(1)
	v_mul_f64 v[8:9], v[16:17], v[6:7]
	v_fmac_f64_e32 v[8:9], v[14:15], v[4:5]
	v_mul_f64 v[4:5], v[16:17], v[4:5]
	v_fma_f64 v[4:5], v[14:15], v[6:7], -v[4:5]
	v_mul_f64 v[8:9], v[8:9], s[0:1]
	v_mul_f64 v[10:11], v[4:5], s[0:1]
	v_lshl_add_u64 v[12:13], v[12:13], 0, s[2:3]
	global_store_dwordx4 v[12:13], v[8:11], off
	v_accvgpr_read_b32 v6, a10
	v_accvgpr_read_b32 v7, a11
	;; [unrolled: 1-line block ×4, first 2 shown]
	s_waitcnt lgkmcnt(0)
	v_mul_f64 v[4:5], v[8:9], v[2:3]
	v_fmac_f64_e32 v[4:5], v[6:7], v[0:1]
	v_mul_f64 v[0:1], v[8:9], v[0:1]
	v_fma_f64 v[6:7], v[6:7], v[2:3], -v[0:1]
	ds_read_b128 v[0:3], v64 offset:8640
	v_accvgpr_read_b32 v14, a34
	v_mul_f64 v[4:5], v[4:5], s[0:1]
	v_mul_f64 v[6:7], v[6:7], s[0:1]
	v_lshl_add_u64 v[12:13], v[12:13], 0, s[2:3]
	v_accvgpr_read_b32 v16, a36
	v_accvgpr_read_b32 v17, a37
	global_store_dwordx4 v[12:13], v[4:7], off
	ds_read_b128 v[4:7], v64 offset:10800
	v_accvgpr_read_b32 v15, a35
	s_waitcnt lgkmcnt(1)
	v_mul_f64 v[8:9], v[16:17], v[2:3]
	v_fmac_f64_e32 v[8:9], v[14:15], v[0:1]
	v_mul_f64 v[0:1], v[16:17], v[0:1]
	v_fma_f64 v[0:1], v[14:15], v[2:3], -v[0:1]
	v_mul_f64 v[8:9], v[8:9], s[0:1]
	v_mul_f64 v[10:11], v[0:1], s[0:1]
	v_lshl_add_u64 v[12:13], v[12:13], 0, s[2:3]
	global_store_dwordx4 v[12:13], v[8:11], off
	v_accvgpr_read_b32 v14, a38
	v_lshl_add_u64 v[12:13], v[12:13], 0, s[2:3]
	v_accvgpr_read_b32 v8, a14
	v_accvgpr_read_b32 v10, a16
	;; [unrolled: 1-line block ×4, first 2 shown]
	s_waitcnt lgkmcnt(0)
	v_mul_f64 v[0:1], v[10:11], v[6:7]
	v_mul_f64 v[2:3], v[10:11], v[4:5]
	v_fmac_f64_e32 v[0:1], v[8:9], v[4:5]
	v_fma_f64 v[2:3], v[8:9], v[6:7], -v[2:3]
	ds_read_b128 v[4:7], v64 offset:12960
	v_mul_f64 v[0:1], v[0:1], s[0:1]
	v_mul_f64 v[2:3], v[2:3], s[0:1]
	v_accvgpr_read_b32 v16, a40
	v_accvgpr_read_b32 v17, a41
	global_store_dwordx4 v[12:13], v[0:3], off
	ds_read_b128 v[0:3], v64 offset:15120
	v_accvgpr_read_b32 v15, a39
	s_waitcnt lgkmcnt(1)
	v_mul_f64 v[8:9], v[16:17], v[6:7]
	v_fmac_f64_e32 v[8:9], v[14:15], v[4:5]
	v_mul_f64 v[4:5], v[16:17], v[4:5]
	v_fma_f64 v[4:5], v[14:15], v[6:7], -v[4:5]
	v_mul_f64 v[8:9], v[8:9], s[0:1]
	v_mul_f64 v[10:11], v[4:5], s[0:1]
	v_lshl_add_u64 v[12:13], v[12:13], 0, s[2:3]
	global_store_dwordx4 v[12:13], v[8:11], off
	v_accvgpr_read_b32 v6, a18
	v_accvgpr_read_b32 v7, a19
	;; [unrolled: 1-line block ×4, first 2 shown]
	s_waitcnt lgkmcnt(0)
	v_mul_f64 v[4:5], v[8:9], v[2:3]
	v_fmac_f64_e32 v[4:5], v[6:7], v[0:1]
	v_mul_f64 v[0:1], v[8:9], v[0:1]
	v_fma_f64 v[6:7], v[6:7], v[2:3], -v[0:1]
	ds_read_b128 v[0:3], v64 offset:17280
	v_accvgpr_read_b32 v14, a46
	v_mul_f64 v[4:5], v[4:5], s[0:1]
	v_mul_f64 v[6:7], v[6:7], s[0:1]
	v_lshl_add_u64 v[12:13], v[12:13], 0, s[2:3]
	v_accvgpr_read_b32 v16, a48
	v_accvgpr_read_b32 v17, a49
	global_store_dwordx4 v[12:13], v[4:7], off
	ds_read_b128 v[4:7], v64 offset:19440
	v_accvgpr_read_b32 v15, a47
	s_waitcnt lgkmcnt(1)
	v_mul_f64 v[8:9], v[16:17], v[2:3]
	v_fmac_f64_e32 v[8:9], v[14:15], v[0:1]
	v_mul_f64 v[0:1], v[16:17], v[0:1]
	v_fma_f64 v[0:1], v[14:15], v[2:3], -v[0:1]
	v_mul_f64 v[8:9], v[8:9], s[0:1]
	v_mul_f64 v[10:11], v[0:1], s[0:1]
	v_lshl_add_u64 v[12:13], v[12:13], 0, s[2:3]
	global_store_dwordx4 v[12:13], v[8:11], off
	v_accvgpr_read_b32 v14, a50
	v_lshl_add_u64 v[12:13], v[12:13], 0, s[2:3]
	v_accvgpr_read_b32 v8, a30
	v_accvgpr_read_b32 v10, a32
	;; [unrolled: 1-line block ×4, first 2 shown]
	s_waitcnt lgkmcnt(0)
	v_mul_f64 v[0:1], v[10:11], v[6:7]
	v_mul_f64 v[2:3], v[10:11], v[4:5]
	v_fmac_f64_e32 v[0:1], v[8:9], v[4:5]
	v_fma_f64 v[2:3], v[8:9], v[6:7], -v[2:3]
	ds_read_b128 v[4:7], v64 offset:21600
	v_mul_f64 v[0:1], v[0:1], s[0:1]
	v_mul_f64 v[2:3], v[2:3], s[0:1]
	v_accvgpr_read_b32 v16, a52
	v_accvgpr_read_b32 v17, a53
	global_store_dwordx4 v[12:13], v[0:3], off
	ds_read_b128 v[0:3], v64 offset:23760
	v_accvgpr_read_b32 v15, a51
	s_waitcnt lgkmcnt(1)
	v_mul_f64 v[8:9], v[16:17], v[6:7]
	v_fmac_f64_e32 v[8:9], v[14:15], v[4:5]
	v_mul_f64 v[4:5], v[16:17], v[4:5]
	v_fma_f64 v[4:5], v[14:15], v[6:7], -v[4:5]
	v_mul_f64 v[8:9], v[8:9], s[0:1]
	v_mul_f64 v[10:11], v[4:5], s[0:1]
	v_lshl_add_u64 v[12:13], v[12:13], 0, s[2:3]
	global_store_dwordx4 v[12:13], v[8:11], off
	v_accvgpr_read_b32 v6, a26
	v_accvgpr_read_b32 v7, a27
	;; [unrolled: 1-line block ×4, first 2 shown]
	s_waitcnt lgkmcnt(0)
	v_mul_f64 v[4:5], v[8:9], v[2:3]
	v_fmac_f64_e32 v[4:5], v[6:7], v[0:1]
	v_mul_f64 v[0:1], v[8:9], v[0:1]
	ds_read_b128 v[8:11], v64 offset:25920
	v_fma_f64 v[0:1], v[6:7], v[2:3], -v[0:1]
	v_mul_f64 v[6:7], v[0:1], s[0:1]
	v_lshl_add_u64 v[0:1], v[12:13], 0, s[2:3]
	v_accvgpr_read_b32 v12, a42
	v_mul_f64 v[4:5], v[4:5], s[0:1]
	v_accvgpr_read_b32 v14, a44
	v_accvgpr_read_b32 v15, a45
	global_store_dwordx4 v[0:1], v[4:7], off
	v_accvgpr_read_b32 v13, a43
	s_waitcnt lgkmcnt(0)
	v_mul_f64 v[2:3], v[14:15], v[10:11]
	v_mul_f64 v[4:5], v[14:15], v[8:9]
	v_fmac_f64_e32 v[2:3], v[12:13], v[8:9]
	v_fma_f64 v[4:5], v[12:13], v[10:11], -v[4:5]
	v_mul_f64 v[2:3], v[2:3], s[0:1]
	v_mul_f64 v[4:5], v[4:5], s[0:1]
	v_lshl_add_u64 v[0:1], v[0:1], 0, s[2:3]
	global_store_dwordx4 v[0:1], v[2:5], off
	s_and_b64 exec, exec, vcc
	s_cbranch_execz .LBB0_15
; %bb.14:
	global_load_dwordx4 v[2:5], v[66:67], off offset:1872
	ds_read_b128 v[6:9], v64 offset:1872
	ds_read_b128 v[10:13], v64 offset:4032
	v_mov_b32_e32 v14, 0xffffa210
	s_mulk_i32 s5, 0xa210
	v_mad_u64_u32 v[14:15], s[6:7], s4, v14, v[0:1]
	s_sub_i32 s4, s5, s4
	v_add_u32_e32 v15, s4, v15
	s_movk_i32 s4, 0x1000
	s_waitcnt vmcnt(0) lgkmcnt(1)
	v_mul_f64 v[0:1], v[8:9], v[4:5]
	v_mul_f64 v[4:5], v[6:7], v[4:5]
	v_fmac_f64_e32 v[0:1], v[6:7], v[2:3]
	v_fma_f64 v[2:3], v[2:3], v[8:9], -v[4:5]
	v_mul_f64 v[0:1], v[0:1], s[0:1]
	v_mul_f64 v[2:3], v[2:3], s[0:1]
	global_store_dwordx4 v[14:15], v[0:3], off
	global_load_dwordx4 v[0:3], v[66:67], off offset:4032
	v_add_co_u32_e32 v4, vcc, s4, v66
	v_lshl_add_u64 v[14:15], v[14:15], 0, s[2:3]
	s_nop 0
	v_addc_co_u32_e32 v5, vcc, 0, v67, vcc
	s_movk_i32 s4, 0x2000
	s_waitcnt vmcnt(0) lgkmcnt(0)
	v_mul_f64 v[6:7], v[12:13], v[2:3]
	v_mul_f64 v[2:3], v[10:11], v[2:3]
	v_fmac_f64_e32 v[6:7], v[10:11], v[0:1]
	v_fma_f64 v[2:3], v[0:1], v[12:13], -v[2:3]
	v_mul_f64 v[0:1], v[6:7], s[0:1]
	v_mul_f64 v[2:3], v[2:3], s[0:1]
	global_store_dwordx4 v[14:15], v[0:3], off
	global_load_dwordx4 v[0:3], v[4:5], off offset:2096
	ds_read_b128 v[4:7], v64 offset:6192
	ds_read_b128 v[8:11], v64 offset:8352
	v_add_co_u32_e32 v12, vcc, s4, v66
	v_lshl_add_u64 v[14:15], v[14:15], 0, s[2:3]
	s_nop 0
	v_addc_co_u32_e32 v13, vcc, 0, v67, vcc
	s_movk_i32 s4, 0x3000
	s_waitcnt vmcnt(0) lgkmcnt(1)
	v_mul_f64 v[16:17], v[6:7], v[2:3]
	v_mul_f64 v[2:3], v[4:5], v[2:3]
	v_fmac_f64_e32 v[16:17], v[4:5], v[0:1]
	v_fma_f64 v[2:3], v[0:1], v[6:7], -v[2:3]
	v_mul_f64 v[0:1], v[16:17], s[0:1]
	v_mul_f64 v[2:3], v[2:3], s[0:1]
	global_store_dwordx4 v[14:15], v[0:3], off
	global_load_dwordx4 v[0:3], v[12:13], off offset:160
	v_lshl_add_u64 v[14:15], v[14:15], 0, s[2:3]
	s_waitcnt vmcnt(0) lgkmcnt(0)
	v_mul_f64 v[4:5], v[10:11], v[2:3]
	v_mul_f64 v[2:3], v[8:9], v[2:3]
	v_fmac_f64_e32 v[4:5], v[8:9], v[0:1]
	v_fma_f64 v[2:3], v[0:1], v[10:11], -v[2:3]
	v_mul_f64 v[0:1], v[4:5], s[0:1]
	v_mul_f64 v[2:3], v[2:3], s[0:1]
	global_store_dwordx4 v[14:15], v[0:3], off
	global_load_dwordx4 v[0:3], v[12:13], off offset:2320
	ds_read_b128 v[4:7], v64 offset:10512
	ds_read_b128 v[8:11], v64 offset:12672
	v_add_co_u32_e32 v12, vcc, s4, v66
	v_lshl_add_u64 v[14:15], v[14:15], 0, s[2:3]
	s_nop 0
	v_addc_co_u32_e32 v13, vcc, 0, v67, vcc
	s_movk_i32 s4, 0x4000
	s_waitcnt vmcnt(0) lgkmcnt(1)
	v_mul_f64 v[16:17], v[6:7], v[2:3]
	v_mul_f64 v[2:3], v[4:5], v[2:3]
	v_fmac_f64_e32 v[16:17], v[4:5], v[0:1]
	v_fma_f64 v[2:3], v[0:1], v[6:7], -v[2:3]
	v_mul_f64 v[0:1], v[16:17], s[0:1]
	v_mul_f64 v[2:3], v[2:3], s[0:1]
	global_store_dwordx4 v[14:15], v[0:3], off
	global_load_dwordx4 v[0:3], v[12:13], off offset:384
	v_lshl_add_u64 v[14:15], v[14:15], 0, s[2:3]
	;; [unrolled: 26-line block ×4, first 2 shown]
	s_waitcnt vmcnt(0) lgkmcnt(0)
	v_mul_f64 v[4:5], v[10:11], v[2:3]
	v_mul_f64 v[2:3], v[8:9], v[2:3]
	v_fmac_f64_e32 v[4:5], v[8:9], v[0:1]
	v_fma_f64 v[2:3], v[0:1], v[10:11], -v[2:3]
	v_mul_f64 v[0:1], v[4:5], s[0:1]
	v_mul_f64 v[2:3], v[2:3], s[0:1]
	global_store_dwordx4 v[14:15], v[0:3], off
	global_load_dwordx4 v[0:3], v[12:13], off offset:2992
	ds_read_b128 v[4:7], v64 offset:23472
	ds_read_b128 v[8:11], v64 offset:25632
	v_add_co_u32_e32 v12, vcc, s4, v66
	v_lshl_add_u64 v[14:15], v[14:15], 0, s[2:3]
	s_nop 0
	v_addc_co_u32_e32 v13, vcc, 0, v67, vcc
	s_waitcnt vmcnt(0) lgkmcnt(1)
	v_mul_f64 v[16:17], v[6:7], v[2:3]
	v_mul_f64 v[2:3], v[4:5], v[2:3]
	v_fmac_f64_e32 v[16:17], v[4:5], v[0:1]
	v_fma_f64 v[2:3], v[0:1], v[6:7], -v[2:3]
	v_mul_f64 v[0:1], v[16:17], s[0:1]
	v_mul_f64 v[2:3], v[2:3], s[0:1]
	global_store_dwordx4 v[14:15], v[0:3], off
	global_load_dwordx4 v[0:3], v[12:13], off offset:1056
	v_lshl_add_u64 v[14:15], v[14:15], 0, s[2:3]
	s_waitcnt vmcnt(0) lgkmcnt(0)
	v_mul_f64 v[4:5], v[10:11], v[2:3]
	v_mul_f64 v[2:3], v[8:9], v[2:3]
	v_fmac_f64_e32 v[4:5], v[8:9], v[0:1]
	v_fma_f64 v[2:3], v[0:1], v[10:11], -v[2:3]
	v_mul_f64 v[0:1], v[4:5], s[0:1]
	v_mul_f64 v[2:3], v[2:3], s[0:1]
	global_store_dwordx4 v[14:15], v[0:3], off
	global_load_dwordx4 v[0:3], v[12:13], off offset:3216
	ds_read_b128 v[4:7], v64 offset:27792
	s_waitcnt vmcnt(0) lgkmcnt(0)
	v_mul_f64 v[8:9], v[6:7], v[2:3]
	v_mul_f64 v[2:3], v[4:5], v[2:3]
	v_fmac_f64_e32 v[8:9], v[4:5], v[0:1]
	v_fma_f64 v[2:3], v[0:1], v[6:7], -v[2:3]
	v_mul_f64 v[0:1], v[8:9], s[0:1]
	v_mul_f64 v[2:3], v[2:3], s[0:1]
	v_lshl_add_u64 v[4:5], v[14:15], 0, s[2:3]
	global_store_dwordx4 v[4:5], v[0:3], off
.LBB0_15:
	s_endpgm
	.section	.rodata,"a",@progbits
	.p2align	6, 0x0
	.amdhsa_kernel bluestein_single_fwd_len1755_dim1_dp_op_CI_CI
		.amdhsa_group_segment_fixed_size 28080
		.amdhsa_private_segment_fixed_size 0
		.amdhsa_kernarg_size 104
		.amdhsa_user_sgpr_count 2
		.amdhsa_user_sgpr_dispatch_ptr 0
		.amdhsa_user_sgpr_queue_ptr 0
		.amdhsa_user_sgpr_kernarg_segment_ptr 1
		.amdhsa_user_sgpr_dispatch_id 0
		.amdhsa_user_sgpr_kernarg_preload_length 0
		.amdhsa_user_sgpr_kernarg_preload_offset 0
		.amdhsa_user_sgpr_private_segment_size 0
		.amdhsa_uses_dynamic_stack 0
		.amdhsa_enable_private_segment 0
		.amdhsa_system_sgpr_workgroup_id_x 1
		.amdhsa_system_sgpr_workgroup_id_y 0
		.amdhsa_system_sgpr_workgroup_id_z 0
		.amdhsa_system_sgpr_workgroup_info 0
		.amdhsa_system_vgpr_workitem_id 0
		.amdhsa_next_free_vgpr 404
		.amdhsa_next_free_sgpr 48
		.amdhsa_accum_offset 256
		.amdhsa_reserve_vcc 1
		.amdhsa_float_round_mode_32 0
		.amdhsa_float_round_mode_16_64 0
		.amdhsa_float_denorm_mode_32 3
		.amdhsa_float_denorm_mode_16_64 3
		.amdhsa_dx10_clamp 1
		.amdhsa_ieee_mode 1
		.amdhsa_fp16_overflow 0
		.amdhsa_tg_split 0
		.amdhsa_exception_fp_ieee_invalid_op 0
		.amdhsa_exception_fp_denorm_src 0
		.amdhsa_exception_fp_ieee_div_zero 0
		.amdhsa_exception_fp_ieee_overflow 0
		.amdhsa_exception_fp_ieee_underflow 0
		.amdhsa_exception_fp_ieee_inexact 0
		.amdhsa_exception_int_div_zero 0
	.end_amdhsa_kernel
	.text
.Lfunc_end0:
	.size	bluestein_single_fwd_len1755_dim1_dp_op_CI_CI, .Lfunc_end0-bluestein_single_fwd_len1755_dim1_dp_op_CI_CI
                                        ; -- End function
	.section	.AMDGPU.csdata,"",@progbits
; Kernel info:
; codeLenInByte = 34312
; NumSgprs: 54
; NumVgprs: 256
; NumAgprs: 148
; TotalNumVgprs: 404
; ScratchSize: 0
; MemoryBound: 0
; FloatMode: 240
; IeeeMode: 1
; LDSByteSize: 28080 bytes/workgroup (compile time only)
; SGPRBlocks: 6
; VGPRBlocks: 50
; NumSGPRsForWavesPerEU: 54
; NumVGPRsForWavesPerEU: 404
; AccumOffset: 256
; Occupancy: 1
; WaveLimiterHint : 1
; COMPUTE_PGM_RSRC2:SCRATCH_EN: 0
; COMPUTE_PGM_RSRC2:USER_SGPR: 2
; COMPUTE_PGM_RSRC2:TRAP_HANDLER: 0
; COMPUTE_PGM_RSRC2:TGID_X_EN: 1
; COMPUTE_PGM_RSRC2:TGID_Y_EN: 0
; COMPUTE_PGM_RSRC2:TGID_Z_EN: 0
; COMPUTE_PGM_RSRC2:TIDIG_COMP_CNT: 0
; COMPUTE_PGM_RSRC3_GFX90A:ACCUM_OFFSET: 63
; COMPUTE_PGM_RSRC3_GFX90A:TG_SPLIT: 0
	.text
	.p2alignl 6, 3212836864
	.fill 256, 4, 3212836864
	.type	__hip_cuid_89fbd0dcd6ce2744,@object ; @__hip_cuid_89fbd0dcd6ce2744
	.section	.bss,"aw",@nobits
	.globl	__hip_cuid_89fbd0dcd6ce2744
__hip_cuid_89fbd0dcd6ce2744:
	.byte	0                               ; 0x0
	.size	__hip_cuid_89fbd0dcd6ce2744, 1

	.ident	"AMD clang version 19.0.0git (https://github.com/RadeonOpenCompute/llvm-project roc-6.4.0 25133 c7fe45cf4b819c5991fe208aaa96edf142730f1d)"
	.section	".note.GNU-stack","",@progbits
	.addrsig
	.addrsig_sym __hip_cuid_89fbd0dcd6ce2744
	.amdgpu_metadata
---
amdhsa.kernels:
  - .agpr_count:     148
    .args:
      - .actual_access:  read_only
        .address_space:  global
        .offset:         0
        .size:           8
        .value_kind:     global_buffer
      - .actual_access:  read_only
        .address_space:  global
        .offset:         8
        .size:           8
        .value_kind:     global_buffer
      - .actual_access:  read_only
        .address_space:  global
        .offset:         16
        .size:           8
        .value_kind:     global_buffer
      - .actual_access:  read_only
        .address_space:  global
        .offset:         24
        .size:           8
        .value_kind:     global_buffer
      - .actual_access:  read_only
        .address_space:  global
        .offset:         32
        .size:           8
        .value_kind:     global_buffer
      - .offset:         40
        .size:           8
        .value_kind:     by_value
      - .address_space:  global
        .offset:         48
        .size:           8
        .value_kind:     global_buffer
      - .address_space:  global
        .offset:         56
        .size:           8
        .value_kind:     global_buffer
      - .address_space:  global
        .offset:         64
        .size:           8
        .value_kind:     global_buffer
      - .address_space:  global
        .offset:         72
        .size:           8
        .value_kind:     global_buffer
      - .offset:         80
        .size:           4
        .value_kind:     by_value
      - .address_space:  global
        .offset:         88
        .size:           8
        .value_kind:     global_buffer
      - .address_space:  global
        .offset:         96
        .size:           8
        .value_kind:     global_buffer
    .group_segment_fixed_size: 28080
    .kernarg_segment_align: 8
    .kernarg_segment_size: 104
    .language:       OpenCL C
    .language_version:
      - 2
      - 0
    .max_flat_workgroup_size: 117
    .name:           bluestein_single_fwd_len1755_dim1_dp_op_CI_CI
    .private_segment_fixed_size: 0
    .sgpr_count:     54
    .sgpr_spill_count: 0
    .symbol:         bluestein_single_fwd_len1755_dim1_dp_op_CI_CI.kd
    .uniform_work_group_size: 1
    .uses_dynamic_stack: false
    .vgpr_count:     404
    .vgpr_spill_count: 0
    .wavefront_size: 64
amdhsa.target:   amdgcn-amd-amdhsa--gfx950
amdhsa.version:
  - 1
  - 2
...

	.end_amdgpu_metadata
